;; amdgpu-corpus repo=ROCm/rocFFT kind=compiled arch=gfx950 opt=O3
	.text
	.amdgcn_target "amdgcn-amd-amdhsa--gfx950"
	.amdhsa_code_object_version 6
	.protected	bluestein_single_back_len90_dim1_sp_op_CI_CI ; -- Begin function bluestein_single_back_len90_dim1_sp_op_CI_CI
	.globl	bluestein_single_back_len90_dim1_sp_op_CI_CI
	.p2align	8
	.type	bluestein_single_back_len90_dim1_sp_op_CI_CI,@function
bluestein_single_back_len90_dim1_sp_op_CI_CI: ; @bluestein_single_back_len90_dim1_sp_op_CI_CI
; %bb.0:
	s_load_dwordx4 s[12:15], s[0:1], 0x28
	v_mul_u32_u24_e32 v1, 0x1c72, v0
	v_lshrrev_b32_e32 v2, 16, v1
	v_mad_u64_u32 v[66:67], s[2:3], s2, 7, v[2:3]
	v_mov_b32_e32 v57, 0
	v_mov_b32_e32 v67, v57
	s_waitcnt lgkmcnt(0)
	v_cmp_gt_u64_e32 vcc, s[12:13], v[66:67]
	s_and_saveexec_b64 s[2:3], vcc
	s_cbranch_execz .LBB0_23
; %bb.1:
	s_load_dwordx4 s[4:7], s[0:1], 0x18
	s_load_dwordx2 s[12:13], s[0:1], 0x0
	v_mul_lo_u16_e32 v1, 9, v2
	v_sub_u16_e32 v56, v0, v1
	v_mov_b32_e32 v4, s14
	s_waitcnt lgkmcnt(0)
	s_load_dwordx4 s[8:11], s[4:5], 0x0
	v_mov_b32_e32 v5, s15
	v_or_b32_e32 v112, 48, v56
	v_cmp_gt_u16_e32 vcc, 3, v56
	s_waitcnt lgkmcnt(0)
	v_mad_u64_u32 v[0:1], s[2:3], s10, v66, 0
	v_mov_b32_e32 v2, v1
	v_mad_u64_u32 v[2:3], s[2:3], s11, v66, v[2:3]
	v_mov_b32_e32 v1, v2
	v_mad_u64_u32 v[2:3], s[2:3], s8, v56, 0
	v_mov_b32_e32 v6, v3
	v_mad_u64_u32 v[6:7], s[2:3], s9, v56, v[6:7]
	s_mul_i32 s2, s9, 30
	s_mul_hi_u32 s3, s8, 30
	s_add_i32 s3, s3, s2
	s_mul_i32 s2, s8, 30
	v_mov_b32_e32 v3, v6
	v_lshl_add_u64 v[0:1], v[0:1], 3, v[4:5]
	s_lshl_b64 s[10:11], s[2:3], 3
	s_mul_hi_u32 s3, s8, 0xffffffcd
	v_lshl_add_u64 v[2:3], v[2:3], 3, v[0:1]
	s_mul_i32 s2, s9, 0xffffffcd
	s_sub_i32 s3, s3, s8
	v_lshl_add_u64 v[6:7], v[2:3], 0, s[10:11]
	s_add_i32 s15, s3, s2
	s_mul_i32 s14, s8, 0xffffffcd
	v_lshlrev_b32_e32 v4, 3, v56
	v_lshl_add_u64 v[8:9], v[6:7], 0, s[10:11]
	s_lshl_b64 s[2:3], s[14:15], 3
	global_load_dwordx2 v[76:77], v4, s[12:13]
	global_load_dwordx2 v[74:75], v4, s[12:13] offset:240
	global_load_dwordx2 v[70:71], v4, s[12:13] offset:480
	global_load_dwordx2 v[10:11], v[2:3], off
	v_mov_b32_e32 v5, v57
	global_load_dwordx2 v[2:3], v[6:7], off
	v_lshl_add_u64 v[54:55], s[12:13], 0, v[4:5]
	global_load_dwordx2 v[6:7], v[8:9], off
	v_lshl_add_u64 v[8:9], v[8:9], 0, s[2:3]
	global_load_dwordx2 v[12:13], v[8:9], off
	global_load_dwordx2 v[72:73], v4, s[12:13] offset:72
	v_lshl_add_u64 v[8:9], v[8:9], 0, s[10:11]
	global_load_dwordx2 v[14:15], v[8:9], off
	global_load_dwordx2 v[68:69], v4, s[12:13] offset:312
	;; [unrolled: 3-line block ×3, first 2 shown]
	v_lshl_add_u64 v[8:9], v[8:9], 0, s[2:3]
	v_mad_u64_u32 v[20:21], s[2:3], s8, v112, 0
	v_mov_b32_e32 v22, v21
	v_mad_u64_u32 v[22:23], s[2:3], s9, v112, v[22:23]
	v_mov_b32_e32 v21, v22
	global_load_dwordx2 v[18:19], v[8:9], off
	global_load_dwordx2 v[60:61], v4, s[12:13] offset:144
	v_lshl_add_u64 v[0:1], v[20:21], 3, v[0:1]
	global_load_dwordx2 v[20:21], v[0:1], off
	global_load_dwordx2 v[62:63], v4, s[12:13] offset:384
	v_mov_b32_e32 v0, 0x1e0
	v_mad_u64_u32 v[0:1], s[2:3], s8, v0, v[8:9]
	s_mul_i32 s2, s9, 0x1e0
	s_nop 0
	v_add_u32_e32 v1, s2, v1
	global_load_dwordx2 v[58:59], v4, s[12:13] offset:624
	global_load_dwordx2 v[8:9], v[0:1], off
	s_mov_b32 s2, 0x24924925
	v_mul_hi_u32 v22, v66, s2
	v_sub_u32_e32 v23, v66, v22
	v_lshrrev_b32_e32 v23, 1, v23
	v_add_u32_e32 v22, v23, v22
	v_lshrrev_b32_e32 v22, 2, v22
	v_mul_lo_u32 v5, v22, 7
	v_sub_u32_e32 v5, v66, v5
	v_mul_u32_u24_e32 v5, 0x5a, v5
	v_lshlrev_b32_e32 v113, 3, v5
	v_add_u32_e32 v67, v4, v113
	s_load_dwordx2 s[8:9], s[0:1], 0x38
	v_cmp_lt_u16_e64 s[2:3], 2, v56
	s_load_dwordx4 s[4:7], s[6:7], 0x0
	s_waitcnt vmcnt(14)
	v_mul_f32_e32 v4, v11, v77
	v_mul_f32_e32 v5, v10, v77
	v_fmac_f32_e32 v4, v10, v76
	v_fma_f32 v5, v11, v76, -v5
	s_waitcnt vmcnt(13)
	v_mul_f32_e32 v10, v3, v75
	v_mul_f32_e32 v11, v2, v75
	v_fmac_f32_e32 v10, v2, v74
	v_fma_f32 v11, v3, v74, -v11
	;; [unrolled: 5-line block ×3, first 2 shown]
	s_waitcnt vmcnt(10)
	v_mul_f32_e32 v6, v13, v73
	ds_write_b64 v67, v[2:3] offset:480
	v_mul_f32_e32 v2, v12, v73
	v_fmac_f32_e32 v6, v12, v72
	v_fma_f32 v7, v13, v72, -v2
	ds_write_b64 v67, v[10:11] offset:240
	ds_write2_b64 v67, v[4:5], v[6:7] offset1:9
	s_waitcnt vmcnt(4)
	v_mul_f32_e32 v6, v19, v61
	v_mul_f32_e32 v7, v18, v61
	v_fmac_f32_e32 v6, v18, v60
	v_fma_f32 v7, v19, v60, -v7
	v_mul_f32_e32 v2, v15, v69
	v_mul_f32_e32 v3, v14, v69
	ds_write_b64 v67, v[6:7] offset:144
	s_waitcnt vmcnt(2)
	v_mul_f32_e32 v6, v21, v63
	v_mul_f32_e32 v7, v20, v63
	v_fmac_f32_e32 v2, v14, v68
	v_fma_f32 v3, v15, v68, -v3
	v_fmac_f32_e32 v6, v20, v62
	v_fma_f32 v7, v21, v62, -v7
	v_mul_f32_e32 v4, v17, v65
	v_mul_f32_e32 v5, v16, v65
	ds_write2_b64 v67, v[2:3], v[6:7] offset0:39 offset1:48
	s_waitcnt vmcnt(0)
	v_mul_f32_e32 v2, v9, v59
	v_mul_f32_e32 v3, v8, v59
	v_fmac_f32_e32 v4, v16, v64
	v_fma_f32 v5, v17, v64, -v5
	v_fmac_f32_e32 v2, v8, v58
	v_fma_f32 v3, v9, v58, -v3
	ds_write2_b64 v67, v[4:5], v[2:3] offset0:69 offset1:78
	s_and_saveexec_b64 s[16:17], vcc
	s_cbranch_execz .LBB0_3
; %bb.2:
	v_lshl_add_u64 v[0:1], s[14:15], 3, v[0:1]
	global_load_dwordx2 v[2:3], v[0:1], off
	global_load_dwordx2 v[4:5], v[54:55], off offset:216
	v_lshl_add_u64 v[0:1], v[0:1], 0, s[10:11]
	global_load_dwordx2 v[6:7], v[0:1], off
	global_load_dwordx2 v[8:9], v[54:55], off offset:456
	global_load_dwordx2 v[10:11], v[54:55], off offset:696
	v_lshl_add_u64 v[0:1], v[0:1], 0, s[10:11]
	global_load_dwordx2 v[0:1], v[0:1], off
	s_waitcnt vmcnt(4)
	v_mul_f32_e32 v12, v3, v5
	v_mul_f32_e32 v5, v2, v5
	v_fmac_f32_e32 v12, v2, v4
	v_fma_f32 v13, v3, v4, -v5
	s_waitcnt vmcnt(2)
	v_mul_f32_e32 v2, v7, v9
	v_mul_f32_e32 v3, v6, v9
	s_waitcnt vmcnt(0)
	v_mul_f32_e32 v4, v1, v11
	v_mul_f32_e32 v5, v0, v11
	v_fmac_f32_e32 v2, v6, v8
	v_fma_f32 v3, v7, v8, -v3
	v_fmac_f32_e32 v4, v0, v10
	v_fma_f32 v5, v1, v10, -v5
	ds_write2_b64 v67, v[12:13], v[2:3] offset0:27 offset1:57
	ds_write_b64 v67, v[4:5] offset:696
.LBB0_3:
	s_or_b64 exec, exec, s[16:17]
	s_waitcnt lgkmcnt(0)
	; wave barrier
	s_waitcnt lgkmcnt(0)
	ds_read2_b64 v[8:11], v67 offset1:9
	ds_read2_b64 v[0:3], v67 offset0:18 offset1:30
	ds_read2_b64 v[14:17], v67 offset0:60 offset1:69
	;; [unrolled: 1-line block ×3, first 2 shown]
	ds_read_b64 v[24:25], v67 offset:624
                                        ; implicit-def: $vgpr26
                                        ; implicit-def: $vgpr18
	s_and_saveexec_b64 s[10:11], vcc
	s_cbranch_execz .LBB0_5
; %bb.4:
	ds_read2_b64 v[18:21], v67 offset0:27 offset1:57
	ds_read_b64 v[26:27], v67 offset:696
.LBB0_5:
	s_or_b64 exec, exec, s[10:11]
	s_waitcnt lgkmcnt(1)
	v_pk_add_f32 v[12:13], v[18:19], v[20:21]
	s_waitcnt lgkmcnt(0)
	v_pk_add_f32 v[34:35], v[20:21], v[26:27]
	v_pk_add_f32 v[20:21], v[20:21], v[26:27] neg_lo:[0,1] neg_hi:[0,1]
	s_mov_b32 s10, 0x3f5db3d7
	v_pk_fma_f32 v[18:19], v[34:35], 0.5, v[18:19] op_sel_hi:[1,0,1] neg_lo:[1,0,0] neg_hi:[1,0,0]
	v_pk_mul_f32 v[20:21], v[20:21], s[10:11] op_sel_hi:[1,0]
	v_pk_add_f32 v[28:29], v[8:9], v[2:3]
	v_pk_add_f32 v[38:39], v[18:19], v[20:21] op_sel:[0,1] op_sel_hi:[1,0] neg_lo:[0,1] neg_hi:[0,1]
	v_pk_add_f32 v[36:37], v[18:19], v[20:21] op_sel:[0,1] op_sel_hi:[1,0]
	v_pk_add_f32 v[20:21], v[2:3], v[14:15]
	v_pk_add_f32 v[2:3], v[2:3], v[14:15] neg_lo:[0,1] neg_hi:[0,1]
	v_mul_lo_u16_e32 v18, 3, v56
	v_pk_fma_f32 v[8:9], v[20:21], 0.5, v[8:9] op_sel_hi:[1,0,1] neg_lo:[1,0,0] neg_hi:[1,0,0]
	v_pk_mul_f32 v[2:3], v[2:3], s[10:11] op_sel_hi:[1,0]
	v_lshl_add_u32 v86, v18, 3, v113
	v_pk_add_f32 v[18:19], v[28:29], v[14:15]
	v_pk_add_f32 v[14:15], v[8:9], v[2:3] op_sel:[0,1] op_sel_hi:[1,0]
	v_pk_add_f32 v[2:3], v[8:9], v[2:3] op_sel:[0,1] op_sel_hi:[1,0] neg_lo:[0,1] neg_hi:[0,1]
	v_mov_b32_e32 v8, v14
	v_mov_b32_e32 v9, v3
	v_pk_add_f32 v[30:31], v[10:11], v[4:5]
	s_waitcnt lgkmcnt(0)
	; wave barrier
	ds_write2_b64 v86, v[18:19], v[8:9] offset1:1
	v_pk_add_f32 v[8:9], v[4:5], v[16:17]
	v_pk_add_f32 v[4:5], v[4:5], v[16:17] neg_lo:[0,1] neg_hi:[0,1]
	v_lshl_add_u64 v[44:45], v[56:57], 0, 9
	v_mov_b32_e32 v3, v15
	v_pk_fma_f32 v[8:9], v[8:9], 0.5, v[10:11] op_sel_hi:[1,0,1] neg_lo:[1,0,0] neg_hi:[1,0,0]
	v_pk_mul_f32 v[4:5], v[4:5], s[10:11] op_sel_hi:[1,0]
	ds_write_b64 v86, v[2:3] offset:16
	v_mul_u32_u24_e32 v2, 3, v44
	v_pk_add_f32 v[10:11], v[8:9], v[4:5] op_sel:[0,1] op_sel_hi:[1,0]
	v_pk_add_f32 v[4:5], v[8:9], v[4:5] op_sel:[0,1] op_sel_hi:[1,0] neg_lo:[0,1] neg_hi:[0,1]
	v_lshl_add_u32 v87, v2, 3, v113
	v_mov_b32_e32 v9, v5
	v_mov_b32_e32 v5, v11
	ds_write_b64 v87, v[4:5] offset:16
	v_pk_add_f32 v[4:5], v[6:7], v[24:25]
	v_pk_add_f32 v[32:33], v[0:1], v[6:7]
	v_pk_fma_f32 v[0:1], v[4:5], 0.5, v[0:1] op_sel_hi:[1,0,1] neg_lo:[1,0,0] neg_hi:[1,0,0]
	v_pk_add_f32 v[4:5], v[6:7], v[24:25] neg_lo:[0,1] neg_hi:[0,1]
	v_lshl_add_u64 v[22:23], v[56:57], 0, 18
	v_pk_add_f32 v[2:3], v[30:31], v[16:17]
	v_mov_b32_e32 v8, v10
	v_pk_mul_f32 v[4:5], v[4:5], s[10:11] op_sel_hi:[1,0]
	v_lshl_add_u64 v[42:43], v[56:57], 0, 27
	ds_write2_b64 v87, v[2:3], v[8:9] offset1:1
	v_mul_u32_u24_e32 v2, 3, v22
	v_pk_add_f32 v[6:7], v[0:1], v[4:5] op_sel:[0,1] op_sel_hi:[1,0]
	v_pk_add_f32 v[0:1], v[0:1], v[4:5] op_sel:[0,1] op_sel_hi:[1,0] neg_lo:[0,1] neg_hi:[0,1]
	v_pk_add_f32 v[12:13], v[12:13], v[26:27]
	v_lshl_add_u32 v88, v2, 3, v113
	v_pk_add_f32 v[2:3], v[32:33], v[24:25]
	v_mov_b32_e32 v4, v6
	v_mov_b32_e32 v5, v1
	;; [unrolled: 1-line block ×3, first 2 shown]
	v_mul_u32_u24_e32 v89, 3, v42
	ds_write2_b64 v88, v[2:3], v[4:5] offset1:1
	ds_write_b64 v88, v[0:1] offset:16
	s_and_saveexec_b64 s[10:11], vcc
	s_cbranch_execz .LBB0_7
; %bb.6:
	v_lshl_add_u32 v2, v89, 3, v113
	v_mov_b32_e32 v0, v36
	v_mov_b32_e32 v1, v39
	ds_write2_b64 v2, v[12:13], v[0:1] offset1:1
	v_mov_b32_e32 v0, v38
	v_mov_b32_e32 v1, v37
	ds_write_b64 v2, v[0:1] offset:16
.LBB0_7:
	s_or_b64 exec, exec, s[10:11]
	s_waitcnt lgkmcnt(0)
	; wave barrier
	s_waitcnt lgkmcnt(0)
	ds_read2_b64 v[28:31], v67 offset1:9
	ds_read2_b64 v[16:19], v67 offset0:18 offset1:30
	ds_read2_b64 v[32:35], v67 offset0:60 offset1:69
	;; [unrolled: 1-line block ×3, first 2 shown]
	ds_read_b64 v[40:41], v67 offset:624
	s_load_dwordx2 s[0:1], s[0:1], 0x8
	s_and_saveexec_b64 s[10:11], s[2:3]
	s_xor_b64 s[10:11], exec, s[10:11]
	s_andn2_saveexec_b64 s[10:11], s[10:11]
	s_cbranch_execz .LBB0_9
; %bb.8:
	ds_read2_b64 v[12:15], v67 offset0:27 offset1:57
	ds_read_b64 v[38:39], v67 offset:696
	s_waitcnt lgkmcnt(0)
	v_mov_b32_e32 v36, v14
	v_mov_b32_e32 v37, v39
	;; [unrolled: 1-line block ×3, first 2 shown]
.LBB0_9:
	s_or_b64 exec, exec, s[10:11]
	s_movk_i32 s10, 0xab
	v_mul_lo_u16_sdwa v0, v56, s10 dst_sel:DWORD dst_unused:UNUSED_PAD src0_sel:BYTE_0 src1_sel:DWORD
	v_lshrrev_b16_e32 v14, 9, v0
	v_mul_lo_u16_e32 v0, 3, v14
	v_sub_u16_e32 v15, v56, v0
	v_lshlrev_b16_e32 v0, 1, v15
	v_and_b32_e32 v0, 0xfe, v0
	v_lshlrev_b32_e32 v20, 3, v0
	v_mul_lo_u16_sdwa v0, v44, s10 dst_sel:DWORD dst_unused:UNUSED_PAD src0_sel:BYTE_0 src1_sel:DWORD
	v_lshrrev_b16_e32 v43, 9, v0
	v_mul_lo_u16_e32 v0, 3, v43
	v_sub_u16_e32 v44, v44, v0
	v_lshlrev_b16_e32 v0, 1, v44
	v_and_b32_e32 v4, 0xfe, v0
	v_mul_lo_u16_sdwa v0, v42, s10 dst_sel:DWORD dst_unused:UNUSED_PAD src0_sel:BYTE_0 src1_sel:DWORD
	v_lshrrev_b16_e32 v0, 9, v0
	v_mul_lo_u16_e32 v0, 3, v0
	v_sub_u16_e32 v57, v42, v0
	v_lshlrev_b16_e32 v0, 1, v57
	v_and_b32_e32 v0, 0xfe, v0
	v_lshlrev_b32_e32 v0, 3, v0
	s_waitcnt lgkmcnt(0)
	global_load_dwordx4 v[0:3], v0, s[0:1]
	v_lshlrev_b32_e32 v21, 3, v4
	global_load_dwordx4 v[8:11], v20, s[0:1]
	global_load_dwordx4 v[4:7], v21, s[0:1]
	v_mul_lo_u16_sdwa v21, v22, s10 dst_sel:DWORD dst_unused:UNUSED_PAD src0_sel:BYTE_0 src1_sel:DWORD
	v_lshrrev_b16_e32 v78, 9, v21
	v_mul_lo_u16_e32 v21, 3, v78
	v_mov_b32_e32 v20, 4
	v_sub_u16_e32 v79, v22, v21
	v_lshlrev_b32_sdwa v20, v20, v79 dst_sel:DWORD dst_unused:UNUSED_PAD src0_sel:DWORD src1_sel:BYTE_0
	global_load_dwordx4 v[20:23], v20, s[0:1]
	v_mad_legacy_u16 v14, v14, 9, v15
	v_mad_legacy_u16 v15, v43, 9, v44
	v_and_b32_e32 v14, 0xff, v14
	v_and_b32_e32 v15, 0xff, v15
	v_lshl_add_u32 v115, v14, 3, v113
	v_lshl_add_u32 v114, v15, 3, v113
	s_mov_b32 s10, 0x3f5db3d7
	s_waitcnt lgkmcnt(0)
	; wave barrier
	s_waitcnt vmcnt(3)
	v_pk_mul_f32 v[14:15], v[36:37], v[0:1] op_sel_hi:[0,1]
	v_pk_mul_f32 v[42:43], v[38:39], v[2:3] op_sel_hi:[0,1]
	s_waitcnt vmcnt(2)
	v_mov_b32_e32 v44, v11
	v_pk_mul_f32 v[48:49], v[18:19], v[8:9] op_sel:[0,1]
	s_waitcnt vmcnt(1)
	v_mov_b32_e32 v46, v7
	v_pk_mul_f32 v[50:51], v[24:25], v[4:5] op_sel:[0,1]
	v_pk_mul_f32 v[44:45], v[32:33], v[44:45] op_sel_hi:[1,0]
	v_pk_fma_f32 v[52:53], v[38:39], v[0:1], v[14:15] op_sel:[1,0,1] op_sel_hi:[1,1,0]
	v_pk_fma_f32 v[14:15], v[38:39], v[0:1], v[14:15] op_sel:[1,0,1] op_sel_hi:[1,1,0] neg_lo:[1,0,0] neg_hi:[1,0,0]
	v_pk_fma_f32 v[38:39], v[36:37], v[2:3], v[42:43] op_sel:[1,0,1] op_sel_hi:[1,1,0]
	v_pk_fma_f32 v[36:37], v[36:37], v[2:3], v[42:43] op_sel:[1,0,1] op_sel_hi:[1,1,0] neg_lo:[1,0,0] neg_hi:[1,0,0]
	v_pk_fma_f32 v[42:43], v[18:19], v[8:9], v[48:49] op_sel:[0,0,1] op_sel_hi:[1,1,0] neg_lo:[0,0,1] neg_hi:[0,0,1]
	v_pk_fma_f32 v[18:19], v[18:19], v[8:9], v[48:49] op_sel:[0,0,1] op_sel_hi:[1,0,0]
	v_pk_mul_f32 v[46:47], v[34:35], v[46:47] op_sel_hi:[1,0]
	v_pk_fma_f32 v[48:49], v[24:25], v[4:5], v[50:51] op_sel:[0,0,1] op_sel_hi:[1,1,0] neg_lo:[0,0,1] neg_hi:[0,0,1]
	v_pk_fma_f32 v[24:25], v[24:25], v[4:5], v[50:51] op_sel:[0,0,1] op_sel_hi:[1,0,0]
	v_pk_fma_f32 v[50:51], v[32:33], v[10:11], v[44:45] op_sel:[0,0,1] op_sel_hi:[1,1,0] neg_lo:[0,0,1] neg_hi:[0,0,1]
	v_pk_fma_f32 v[32:33], v[32:33], v[10:11], v[44:45] op_sel:[0,0,1] op_sel_hi:[1,0,0]
	v_mov_b32_e32 v43, v19
	v_mov_b32_e32 v53, v15
	;; [unrolled: 1-line block ×6, first 2 shown]
	v_pk_fma_f32 v[44:45], v[34:35], v[6:7], v[46:47] op_sel:[0,0,1] op_sel_hi:[1,1,0] neg_lo:[0,0,1] neg_hi:[0,0,1]
	v_pk_fma_f32 v[34:35], v[34:35], v[6:7], v[46:47] op_sel:[0,0,1] op_sel_hi:[1,0,0]
	v_mov_b32_e32 v49, v25
	v_mov_b32_e32 v39, v37
	;; [unrolled: 1-line block ×3, first 2 shown]
	v_pk_add_f32 v[36:37], v[14:15], v[18:19]
	v_pk_add_f32 v[24:25], v[52:53], v[38:39] neg_lo:[0,1] neg_hi:[0,1]
	v_pk_add_f32 v[32:33], v[28:29], v[42:43]
	v_mov_b32_e32 v45, v35
	v_pk_add_f32 v[34:35], v[30:31], v[48:49]
	v_pk_add_f32 v[38:39], v[42:43], v[50:51]
	v_pk_add_f32 v[42:43], v[42:43], v[50:51] neg_lo:[0,1] neg_hi:[0,1]
	v_pk_fma_f32 v[36:37], v[36:37], 0.5, v[12:13] op_sel_hi:[1,0,1] neg_lo:[1,0,0] neg_hi:[1,0,0]
	v_pk_add_f32 v[46:47], v[34:35], v[44:45]
	v_pk_add_f32 v[34:35], v[48:49], v[44:45]
	v_pk_add_f32 v[44:45], v[48:49], v[44:45] neg_lo:[0,1] neg_hi:[0,1]
	v_pk_fma_f32 v[48:49], v[24:25], s[10:11], v[36:37] op_sel_hi:[1,0,1]
	v_pk_fma_f32 v[80:81], v[24:25], s[10:11], v[36:37] op_sel_hi:[1,0,1] neg_lo:[1,0,0] neg_hi:[1,0,0]
	v_pk_fma_f32 v[24:25], v[38:39], 0.5, v[28:29] op_sel_hi:[1,0,1] neg_lo:[1,0,0] neg_hi:[1,0,0]
	v_pk_mul_f32 v[28:29], v[42:43], s[10:11] op_sel_hi:[1,0]
	v_pk_add_f32 v[32:33], v[32:33], v[50:51]
	v_pk_add_f32 v[36:37], v[24:25], v[28:29] op_sel:[0,1] op_sel_hi:[1,0] neg_lo:[0,1] neg_hi:[0,1]
	v_pk_add_f32 v[24:25], v[24:25], v[28:29] op_sel:[0,1] op_sel_hi:[1,0]
	v_pk_fma_f32 v[30:31], v[34:35], 0.5, v[30:31] op_sel_hi:[1,0,1] neg_lo:[1,0,0] neg_hi:[1,0,0]
	v_mov_b32_e32 v28, v24
	v_mov_b32_e32 v29, v37
	;; [unrolled: 1-line block ×3, first 2 shown]
	v_pk_mul_f32 v[24:25], v[44:45], s[10:11] op_sel_hi:[1,0]
	ds_write2_b64 v115, v[32:33], v[28:29] offset1:3
	ds_write_b64 v115, v[36:37] offset:48
	v_pk_add_f32 v[28:29], v[30:31], v[24:25] op_sel:[0,1] op_sel_hi:[1,0]
	v_pk_add_f32 v[24:25], v[30:31], v[24:25] op_sel:[0,1] op_sel_hi:[1,0] neg_lo:[0,1] neg_hi:[0,1]
	v_mov_b32_e32 v30, v28
	v_mov_b32_e32 v31, v25
	;; [unrolled: 1-line block ×3, first 2 shown]
	ds_write_b64 v114, v[24:25] offset:48
	v_mul_u32_u24_e32 v24, 9, v78
	v_add_u32_sdwa v24, v24, v79 dst_sel:DWORD dst_unused:UNUSED_PAD src0_sel:DWORD src1_sel:BYTE_0
	v_lshl_add_u32 v116, v24, 3, v113
	s_waitcnt vmcnt(0)
	v_pk_mul_f32 v[24:25], v[26:27], v[20:21] op_sel:[0,1]
	ds_write2_b64 v114, v[46:47], v[30:31] offset1:3
	v_pk_fma_f32 v[28:29], v[26:27], v[20:21], v[24:25] op_sel:[0,0,1] op_sel_hi:[1,1,0] neg_lo:[0,0,1] neg_hi:[0,0,1]
	v_pk_fma_f32 v[24:25], v[26:27], v[20:21], v[24:25] op_sel:[0,0,1] op_sel_hi:[1,0,0]
	v_mov_b32_e32 v34, v48
	v_mov_b32_e32 v24, v23
	;; [unrolled: 1-line block ×3, first 2 shown]
	v_pk_mul_f32 v[24:25], v[40:41], v[24:25] op_sel_hi:[1,0]
	v_mov_b32_e32 v35, v81
	v_pk_fma_f32 v[26:27], v[40:41], v[22:23], v[24:25] op_sel:[0,0,1] op_sel_hi:[1,1,0] neg_lo:[0,0,1] neg_hi:[0,0,1]
	v_pk_fma_f32 v[24:25], v[40:41], v[22:23], v[24:25] op_sel:[0,0,1] op_sel_hi:[1,0,0]
	v_mov_b32_e32 v81, v49
	v_mov_b32_e32 v27, v25
	v_pk_add_f32 v[24:25], v[16:17], v[28:29]
	v_pk_add_f32 v[30:31], v[28:29], v[26:27]
	;; [unrolled: 1-line block ×3, first 2 shown]
	v_pk_add_f32 v[26:27], v[28:29], v[26:27] neg_lo:[0,1] neg_hi:[0,1]
	v_pk_fma_f32 v[16:17], v[30:31], 0.5, v[16:17] op_sel_hi:[1,0,1] neg_lo:[1,0,0] neg_hi:[1,0,0]
	v_pk_mul_f32 v[26:27], v[26:27], s[10:11] op_sel_hi:[1,0]
	s_nop 0
	v_pk_add_f32 v[28:29], v[16:17], v[26:27] op_sel:[0,1] op_sel_hi:[1,0]
	v_pk_add_f32 v[16:17], v[16:17], v[26:27] op_sel:[0,1] op_sel_hi:[1,0] neg_lo:[0,1] neg_hi:[0,1]
	v_mov_b32_e32 v26, v28
	v_mov_b32_e32 v27, v17
	;; [unrolled: 1-line block ×3, first 2 shown]
	ds_write2_b64 v116, v[24:25], v[26:27] offset1:3
	ds_write_b64 v116, v[16:17] offset:48
	s_and_saveexec_b64 s[10:11], vcc
	s_cbranch_execz .LBB0_11
; %bb.10:
	v_and_b32_e32 v16, 0xff, v57
	v_pk_add_f32 v[12:13], v[12:13], v[14:15]
	v_lshl_add_u32 v16, v16, 3, v113
	v_pk_add_f32 v[12:13], v[12:13], v[18:19]
	ds_write2_b64 v16, v[12:13], v[34:35] offset0:81 offset1:84
	ds_write_b64 v16, v[80:81] offset:696
.LBB0_11:
	s_or_b64 exec, exec, s[10:11]
	s_movk_i32 s10, 0x48
	v_mov_b64_e32 v[12:13], s[0:1]
	v_mad_u64_u32 v[32:33], s[0:1], v56, s10, v[12:13]
	s_waitcnt lgkmcnt(0)
	; wave barrier
	s_waitcnt lgkmcnt(0)
	global_load_dwordx4 v[28:31], v[32:33], off offset:48
	global_load_dwordx4 v[24:27], v[32:33], off offset:64
	;; [unrolled: 1-line block ×4, first 2 shown]
	global_load_dwordx2 v[78:79], v[32:33], off offset:112
	ds_read2_b64 v[36:39], v67 offset1:9
	ds_read2_b64 v[40:43], v67 offset0:18 offset1:27
	ds_read2_b64 v[44:47], v67 offset0:36 offset1:45
	;; [unrolled: 1-line block ×4, first 2 shown]
	s_mov_b32 s14, 0x3f737871
	s_mov_b32 s10, 0x3f167918
	;; [unrolled: 1-line block ×6, first 2 shown]
	s_waitcnt vmcnt(4) lgkmcnt(4)
	v_pk_mul_f32 v[32:33], v[38:39], v[28:29] op_sel_hi:[1,0]
	v_mov_b32_e32 v52, v29
	v_mov_b32_e32 v90, v31
	s_waitcnt vmcnt(3) lgkmcnt(3)
	v_pk_mul_f32 v[92:93], v[42:43], v[24:25] op_sel_hi:[1,0]
	v_mov_b32_e32 v94, v25
	v_mov_b32_e32 v96, v27
	;; [unrolled: 4-line block ×4, first 2 shown]
	s_waitcnt vmcnt(0) lgkmcnt(0)
	v_pk_mul_f32 v[110:111], v[84:85], v[78:79] op_sel_hi:[1,0]
	v_mov_b32_e32 v118, v79
	v_pk_fma_f32 v[52:53], v[38:39], v[52:53], v[32:33] op_sel:[0,0,1] op_sel_hi:[1,1,0]
	v_pk_fma_f32 v[32:33], v[38:39], v[28:29], v[32:33] op_sel:[0,1,1] op_sel_hi:[1,1,0] neg_lo:[1,0,0] neg_hi:[1,0,0]
	v_pk_mul_f32 v[38:39], v[40:41], v[90:91] op_sel_hi:[1,0]
	v_pk_fma_f32 v[90:91], v[42:43], v[94:95], v[92:93] op_sel:[0,0,1] op_sel_hi:[1,1,0]
	v_pk_fma_f32 v[42:43], v[42:43], v[24:25], v[92:93] op_sel:[0,1,1] op_sel_hi:[1,1,0] neg_lo:[1,0,0] neg_hi:[1,0,0]
	v_pk_mul_f32 v[92:93], v[44:45], v[96:97] op_sel_hi:[1,0]
	;; [unrolled: 3-line block ×4, first 2 shown]
	v_pk_fma_f32 v[102:103], v[84:85], v[118:119], v[110:111] op_sel:[0,0,1] op_sel_hi:[1,1,0]
	v_pk_fma_f32 v[84:85], v[84:85], v[78:79], v[110:111] op_sel:[0,1,1] op_sel_hi:[1,1,0] neg_lo:[1,0,0] neg_hi:[1,0,0]
	v_mov_b32_e32 v53, v33
	v_pk_fma_f32 v[32:33], v[40:41], v[30:31], v[38:39] op_sel:[0,0,1] op_sel_hi:[1,1,0] neg_lo:[0,0,1] neg_hi:[0,0,1]
	v_pk_fma_f32 v[38:39], v[40:41], v[30:31], v[38:39] op_sel:[0,0,1] op_sel_hi:[1,0,0]
	v_mov_b32_e32 v91, v43
	v_pk_fma_f32 v[40:41], v[44:45], v[26:27], v[92:93] op_sel:[0,0,1] op_sel_hi:[1,1,0] neg_lo:[0,0,1] neg_hi:[0,0,1]
	v_pk_fma_f32 v[42:43], v[44:45], v[26:27], v[92:93] op_sel:[0,0,1] op_sel_hi:[1,0,0]
	;; [unrolled: 3-line block ×4, first 2 shown]
	v_mov_b32_e32 v103, v85
	v_mov_b32_e32 v33, v39
	;; [unrolled: 1-line block ×5, first 2 shown]
	v_pk_add_f32 v[82:83], v[90:91], v[102:103]
	v_pk_add_f32 v[84:85], v[94:95], v[90:91] neg_lo:[0,1] neg_hi:[0,1]
	v_pk_add_f32 v[92:93], v[98:99], v[102:103] neg_lo:[0,1] neg_hi:[0,1]
	v_pk_add_f32 v[96:97], v[90:91], v[94:95] neg_lo:[0,1] neg_hi:[0,1]
	v_pk_add_f32 v[100:101], v[102:103], v[98:99] neg_lo:[0,1] neg_hi:[0,1]
	v_pk_add_f32 v[104:105], v[40:41], v[44:45]
	v_pk_add_f32 v[108:109], v[32:33], v[48:49]
	v_mov_b32_e32 v42, v43
	v_mov_b32_e32 v43, v40
	;; [unrolled: 1-line block ×4, first 2 shown]
	v_pk_add_f32 v[50:51], v[94:95], v[98:99] neg_lo:[0,1] neg_hi:[0,1]
	v_pk_add_f32 v[106:107], v[32:33], v[48:49] neg_lo:[0,1] neg_hi:[0,1]
	;; [unrolled: 1-line block ×3, first 2 shown]
	v_pk_fma_f32 v[82:83], v[82:83], 0.5, v[52:53] op_sel_hi:[1,0,1] neg_lo:[1,0,0] neg_hi:[1,0,0]
	v_pk_add_f32 v[84:85], v[84:85], v[92:93]
	v_pk_add_f32 v[92:93], v[96:97], v[100:101]
	v_pk_fma_f32 v[96:97], v[108:109], 0.5, v[36:37] op_sel_hi:[1,0,1] neg_lo:[1,0,0] neg_hi:[1,0,0]
	v_pk_fma_f32 v[104:105], v[104:105], 0.5, v[36:37] op_sel_hi:[1,0,1] neg_lo:[1,0,0] neg_hi:[1,0,0]
	v_pk_add_f32 v[42:43], v[42:43], v[46:47] neg_lo:[0,1] neg_hi:[0,1]
	v_pk_add_f32 v[46:47], v[32:33], v[40:41] neg_lo:[0,1] neg_hi:[0,1]
	v_pk_add_f32 v[32:33], v[36:37], v[32:33]
	v_pk_add_f32 v[36:37], v[52:53], v[90:91]
	v_pk_add_f32 v[38:39], v[90:91], v[102:103] neg_lo:[0,1] neg_hi:[0,1]
	v_pk_fma_f32 v[108:109], v[50:51], s[14:15], v[82:83] op_sel:[1,0,0] op_sel_hi:[0,0,1] neg_lo:[1,0,0] neg_hi:[1,0,0]
	v_pk_fma_f32 v[82:83], v[50:51], s[14:15], v[82:83] op_sel:[1,0,0] op_sel_hi:[0,0,1]
	v_pk_add_f32 v[32:33], v[32:33], v[40:41]
	v_pk_add_f32 v[36:37], v[36:37], v[94:95]
	v_pk_add_f32 v[118:119], v[44:45], v[48:49] neg_lo:[0,1] neg_hi:[0,1]
	v_pk_fma_f32 v[82:83], v[38:39], s[10:11], v[82:83] op_sel:[1,0,0] op_sel_hi:[0,0,1] neg_lo:[1,0,0] neg_hi:[1,0,0]
	v_pk_fma_f32 v[108:109], v[38:39], s[10:11], v[108:109] op_sel:[1,0,0] op_sel_hi:[0,0,1]
	v_pk_add_f32 v[32:33], v[32:33], v[44:45]
	v_pk_add_f32 v[36:37], v[36:37], v[98:99]
	;; [unrolled: 1-line block ×3, first 2 shown]
	v_mov_b32_e32 v110, v108
	v_mov_b32_e32 v111, v83
	v_pk_add_f32 v[32:33], v[32:33], v[48:49]
	v_pk_add_f32 v[36:37], v[36:37], v[102:103]
	v_pk_fma_f32 v[110:111], v[84:85], s[0:1], v[110:111] op_sel_hi:[1,0,1]
	v_pk_add_f32 v[40:41], v[32:33], v[36:37] op_sel:[0,1] op_sel_hi:[1,0] neg_lo:[0,1] neg_hi:[0,1]
	v_pk_add_f32 v[36:37], v[32:33], v[36:37] op_sel:[0,1] op_sel_hi:[1,0]
	v_pk_add_f32 v[32:33], v[94:95], v[98:99]
	v_pk_mul_f32 v[118:119], v[110:111], s[0:1] op_sel_hi:[1,0]
	v_pk_fma_f32 v[32:33], v[32:33], 0.5, v[52:53] op_sel_hi:[1,0,1] neg_lo:[1,0,0] neg_hi:[1,0,0]
	v_pk_fma_f32 v[110:111], v[110:111], s[14:15], v[118:119] op_sel:[0,0,1] op_sel_hi:[1,1,0] neg_lo:[0,0,1] neg_hi:[0,0,1]
	v_pk_add_f32 v[118:119], v[48:49], v[44:45] neg_lo:[0,1] neg_hi:[0,1]
	v_pk_fma_f32 v[44:45], v[38:39], s[14:15], v[32:33] op_sel:[1,0,0] op_sel_hi:[0,0,1] neg_lo:[1,0,0] neg_hi:[1,0,0]
	v_pk_fma_f32 v[32:33], v[38:39], s[14:15], v[32:33] op_sel:[1,0,0] op_sel_hi:[0,0,1]
	v_pk_mul_f32 v[48:49], v[50:51], s[10:11] op_sel:[1,0] op_sel_hi:[0,0]
	v_mov_b32_e32 v38, v33
	v_mov_b32_e32 v39, v44
	v_pk_add_f32 v[46:47], v[46:47], v[118:119]
	v_pk_fma_f32 v[118:119], v[106:107], s[14:15], v[104:105] op_sel:[1,0,0] op_sel_hi:[0,0,1] neg_lo:[1,0,0] neg_hi:[1,0,0]
	v_pk_fma_f32 v[104:105], v[106:107], s[14:15], v[104:105] op_sel:[1,0,0] op_sel_hi:[0,0,1]
	v_pk_fma_f32 v[122:123], v[42:43], s[14:15], v[96:97] op_sel_hi:[1,0,1]
	v_pk_fma_f32 v[52:53], v[50:51], s[10:11], v[44:45] op_sel:[1,0,0] op_sel_hi:[0,0,1] neg_lo:[1,0,0] neg_hi:[1,0,0]
	v_pk_add_f32 v[44:45], v[38:39], v[48:49] op_sel:[0,1] op_sel_hi:[1,0]
	v_pk_add_f32 v[38:39], v[38:39], v[48:49] op_sel:[0,1] op_sel_hi:[1,0] neg_lo:[0,1] neg_hi:[0,1]
	v_pk_fma_f32 v[104:105], v[42:43], s[10:11], v[104:105] op_sel_hi:[1,0,1]
	v_pk_fma_f32 v[118:119], v[42:43], s[10:11], v[118:119] op_sel_hi:[1,0,1] neg_lo:[1,0,0] neg_hi:[1,0,0]
	v_pk_fma_f32 v[42:43], v[42:43], s[14:15], v[96:97] op_sel_hi:[1,0,1] neg_lo:[1,0,0] neg_hi:[1,0,0]
	v_pk_fma_f32 v[96:97], v[106:107], s[10:11], v[122:123] op_sel:[1,0,0] op_sel_hi:[0,0,1] neg_lo:[1,0,0] neg_hi:[1,0,0]
	v_pk_mul_f32 v[122:123], v[92:93], s[0:1] op_sel_hi:[1,0]
	v_mov_b32_e32 v45, v39
	v_mov_b32_e32 v120, v118
	;; [unrolled: 1-line block ×4, first 2 shown]
	v_pk_add_f32 v[44:45], v[122:123], v[44:45] op_sel:[1,0] op_sel_hi:[0,1]
	v_pk_fma_f32 v[120:121], v[46:47], s[0:1], v[120:121] op_sel_hi:[1,0,1]
	v_pk_fma_f32 v[38:39], v[46:47], s[0:1], v[104:105] op_sel_hi:[1,0,1]
	v_pk_mul_f32 v[46:47], v[44:45], s[10:11] op_sel_hi:[1,0]
	v_mov_b32_e32 v83, v109
	v_pk_fma_f32 v[48:49], v[44:45], s[16:17], v[46:47] op_sel:[0,0,1] op_sel_hi:[1,0,0]
	v_pk_fma_f32 v[44:45], v[44:45], s[16:17], v[46:47] op_sel:[0,0,1] op_sel_hi:[1,0,0] neg_lo:[0,0,1] neg_hi:[0,0,1]
	v_pk_fma_f32 v[32:33], v[50:51], s[10:11], v[32:33] op_sel:[1,0,0] op_sel_hi:[0,0,1]
	v_mov_b32_e32 v49, v45
	v_pk_add_f32 v[46:47], v[38:39], v[48:49] neg_lo:[0,1] neg_hi:[0,1]
	v_pk_add_f32 v[38:39], v[38:39], v[48:49]
	ds_write2_b64 v67, v[36:37], v[38:39] offset1:9
	v_pk_fma_f32 v[36:37], v[84:85], s[0:1], v[82:83] op_sel_hi:[1,0,1]
	v_pk_fma_f32 v[42:43], v[106:107], s[10:11], v[42:43] op_sel:[1,0,0] op_sel_hi:[0,0,1]
	v_mov_b32_e32 v33, v53
	v_pk_mul_f32 v[38:39], v[36:37], s[14:15] op_sel_hi:[1,0]
	v_mov_b32_e32 v106, v96
	v_mov_b32_e32 v107, v43
	v_pk_fma_f32 v[32:33], v[92:93], s[0:1], v[32:33] op_sel_hi:[1,0,1]
	v_pk_fma_f32 v[48:49], v[36:37], s[0:1], v[38:39] op_sel:[0,0,1] op_sel_hi:[1,0,0]
	v_pk_fma_f32 v[36:37], v[36:37], s[0:1], v[38:39] op_sel:[0,0,1] op_sel_hi:[1,0,0] neg_lo:[0,0,1] neg_hi:[0,0,1]
	v_mov_b32_e32 v43, v97
	v_pk_fma_f32 v[106:107], v[100:101], s[0:1], v[106:107] op_sel_hi:[1,0,1]
	v_pk_mul_f32 v[44:45], v[32:33], s[16:17] op_sel_hi:[1,0]
	v_mov_b32_e32 v38, v49
	v_mov_b32_e32 v39, v36
	v_pk_fma_f32 v[36:37], v[100:101], s[0:1], v[42:43] op_sel_hi:[1,0,1]
	v_pk_add_f32 v[124:125], v[106:107], v[110:111]
	v_pk_fma_f32 v[44:45], v[32:33], s[10:11], v[44:45] op_sel:[0,0,1] op_sel_hi:[1,1,0] neg_lo:[0,0,1] neg_hi:[0,0,1]
	v_pk_add_f32 v[42:43], v[36:37], v[38:39] neg_lo:[0,1] neg_hi:[0,1]
	v_pk_add_f32 v[36:37], v[36:37], v[38:39]
	v_pk_add_f32 v[32:33], v[120:121], v[44:45] neg_lo:[0,1] neg_hi:[0,1]
	v_pk_add_f32 v[44:45], v[120:121], v[44:45]
	ds_write2_b64 v67, v[36:37], v[124:125] offset0:18 offset1:27
	ds_write2_b64 v67, v[44:45], v[40:41] offset0:36 offset1:45
	;; [unrolled: 1-line block ×3, first 2 shown]
	v_pk_add_f32 v[36:37], v[106:107], v[110:111] neg_lo:[0,1] neg_hi:[0,1]
	ds_write2_b64 v67, v[36:37], v[32:33] offset0:72 offset1:81
	s_waitcnt lgkmcnt(0)
	; wave barrier
	s_waitcnt lgkmcnt(0)
	global_load_dwordx2 v[46:47], v[54:55], off offset:720
	s_add_u32 s0, s12, 0x2d0
	s_addc_u32 s1, s13, 0
	v_lshlrev_b32_e32 v36, 3, v56
	global_load_dwordx2 v[50:51], v36, s[0:1] offset:240
	global_load_dwordx2 v[52:53], v36, s[0:1] offset:480
	;; [unrolled: 1-line block ×8, first 2 shown]
	ds_read2_b64 v[38:41], v67 offset1:9
	ds_read2_b64 v[42:45], v67 offset0:18 offset1:30
	s_waitcnt vmcnt(8) lgkmcnt(1)
	v_mul_f32_e32 v37, v39, v47
	v_mul_f32_e32 v99, v38, v47
	v_fma_f32 v98, v38, v46, -v37
	v_fmac_f32_e32 v99, v39, v46
	ds_read2_b64 v[46:49], v67 offset0:60 offset1:69
	s_waitcnt vmcnt(7) lgkmcnt(1)
	v_mul_f32_e32 v37, v45, v51
	v_fma_f32 v38, v44, v50, -v37
	v_mul_f32_e32 v39, v44, v51
	v_fmac_f32_e32 v39, v45, v50
	s_waitcnt vmcnt(6) lgkmcnt(0)
	v_mul_f32_e32 v37, v47, v53
	v_mul_f32_e32 v51, v46, v53
	v_fma_f32 v50, v46, v52, -v37
	v_fmac_f32_e32 v51, v47, v52
	ds_read2_b64 v[44:47], v67 offset0:39 offset1:48
	s_waitcnt vmcnt(5)
	v_mul_f32_e32 v37, v41, v83
	v_mul_f32_e32 v53, v40, v83
	v_fma_f32 v52, v40, v82, -v37
	v_fmac_f32_e32 v53, v41, v82
	s_waitcnt vmcnt(4) lgkmcnt(0)
	v_mul_f32_e32 v37, v45, v85
	v_mul_f32_e32 v41, v44, v85
	v_fma_f32 v40, v44, v84, -v37
	v_fmac_f32_e32 v41, v45, v84
	s_waitcnt vmcnt(3)
	v_mul_f32_e32 v37, v49, v91
	v_mul_f32_e32 v45, v48, v91
	v_fma_f32 v44, v48, v90, -v37
	v_fmac_f32_e32 v45, v49, v90
	ds_write2_b64 v67, v[50:51], v[44:45] offset0:60 offset1:69
	s_waitcnt vmcnt(2)
	v_mul_f32_e32 v37, v43, v93
	v_mul_f32_e32 v45, v42, v93
	v_fma_f32 v44, v42, v92, -v37
	v_fmac_f32_e32 v45, v43, v92
	ds_write2_b64 v67, v[44:45], v[38:39] offset0:18 offset1:30
	ds_read_b64 v[38:39], v67 offset:624
	s_waitcnt vmcnt(1)
	v_mul_f32_e32 v37, v47, v95
	v_mul_f32_e32 v43, v46, v95
	v_fma_f32 v42, v46, v94, -v37
	v_fmac_f32_e32 v43, v47, v94
	ds_write2_b64 v67, v[40:41], v[42:43] offset0:39 offset1:48
	s_waitcnt vmcnt(0) lgkmcnt(1)
	v_mul_f32_e32 v37, v39, v97
	v_mul_f32_e32 v41, v38, v97
	v_fma_f32 v40, v38, v96, -v37
	v_fmac_f32_e32 v41, v39, v96
	ds_write2_b64 v67, v[98:99], v[52:53] offset1:9
	ds_write_b64 v67, v[40:41] offset:624
	s_and_saveexec_b64 s[10:11], vcc
	s_cbranch_execz .LBB0_13
; %bb.12:
	v_mov_b32_e32 v37, 0
	v_lshl_add_u64 v[36:37], s[0:1], 0, v[36:37]
	global_load_dwordx2 v[40:41], v[36:37], off offset:216
	global_load_dwordx2 v[42:43], v[36:37], off offset:456
	;; [unrolled: 1-line block ×3, first 2 shown]
	ds_read2_b64 v[36:39], v67 offset0:27 offset1:57
	ds_read_b64 v[46:47], v67 offset:696
	s_waitcnt vmcnt(2) lgkmcnt(1)
	v_mul_f32_e32 v48, v37, v41
	v_mul_f32_e32 v49, v36, v41
	s_waitcnt vmcnt(1)
	v_mul_f32_e32 v50, v39, v43
	v_mul_f32_e32 v41, v38, v43
	s_waitcnt vmcnt(0) lgkmcnt(0)
	v_mul_f32_e32 v51, v47, v45
	v_mul_f32_e32 v43, v46, v45
	v_fma_f32 v48, v36, v40, -v48
	v_fmac_f32_e32 v49, v37, v40
	v_fma_f32 v40, v38, v42, -v50
	v_fmac_f32_e32 v41, v39, v42
	;; [unrolled: 2-line block ×3, first 2 shown]
	ds_write2_b64 v67, v[48:49], v[40:41] offset0:27 offset1:57
	ds_write_b64 v67, v[42:43] offset:696
.LBB0_13:
	s_or_b64 exec, exec, s[10:11]
	s_waitcnt lgkmcnt(0)
	; wave barrier
	s_waitcnt lgkmcnt(0)
	ds_read2_b64 v[46:49], v67 offset1:9
	ds_read2_b64 v[38:41], v67 offset0:18 offset1:30
	ds_read2_b64 v[50:53], v67 offset0:60 offset1:69
	;; [unrolled: 1-line block ×3, first 2 shown]
	ds_read_b64 v[84:85], v67 offset:624
	s_and_saveexec_b64 s[0:1], vcc
	s_cbranch_execz .LBB0_15
; %bb.14:
	ds_read2_b64 v[32:35], v67 offset0:27 offset1:57
	ds_read_b64 v[80:81], v67 offset:696
.LBB0_15:
	s_or_b64 exec, exec, s[0:1]
	s_waitcnt lgkmcnt(0)
	v_pk_add_f32 v[82:83], v[34:35], v[80:81]
	v_pk_add_f32 v[36:37], v[32:33], v[34:35]
	v_pk_fma_f32 v[32:33], v[82:83], 0.5, v[32:33] op_sel_hi:[1,0,1] neg_lo:[1,0,0] neg_hi:[1,0,0]
	v_pk_add_f32 v[34:35], v[34:35], v[80:81] neg_lo:[0,1] neg_hi:[0,1]
	s_mov_b32 s0, 0x3f5db3d7
	v_pk_add_f32 v[90:91], v[46:47], v[40:41]
	v_pk_add_f32 v[36:37], v[36:37], v[80:81]
	v_pk_fma_f32 v[80:81], v[34:35], s[0:1], v[32:33] op_sel:[0,0,1] op_sel_hi:[1,0,0]
	v_pk_fma_f32 v[82:83], v[34:35], s[0:1], v[32:33] op_sel:[0,0,1] op_sel_hi:[1,0,0] neg_lo:[1,0,0] neg_hi:[1,0,0]
	v_pk_add_f32 v[34:35], v[40:41], v[50:51]
	v_pk_add_f32 v[40:41], v[40:41], v[50:51] neg_lo:[0,1] neg_hi:[0,1]
	v_pk_fma_f32 v[34:35], v[34:35], 0.5, v[46:47] op_sel_hi:[1,0,1] neg_lo:[1,0,0] neg_hi:[1,0,0]
	v_pk_mul_f32 v[40:41], v[40:41], s[0:1] op_sel_hi:[1,0]
	v_pk_add_f32 v[32:33], v[90:91], v[50:51]
	v_pk_add_f32 v[46:47], v[34:35], v[40:41] op_sel:[0,1] op_sel_hi:[1,0] neg_lo:[0,1] neg_hi:[0,1]
	v_pk_add_f32 v[34:35], v[34:35], v[40:41] op_sel:[0,1] op_sel_hi:[1,0]
	v_mov_b32_e32 v40, v46
	v_mov_b32_e32 v41, v35
	;; [unrolled: 1-line block ×3, first 2 shown]
	s_waitcnt lgkmcnt(0)
	; wave barrier
	ds_write2_b64 v86, v[32:33], v[40:41] offset1:1
	ds_write_b64 v86, v[34:35] offset:16
	v_pk_add_f32 v[34:35], v[42:43], v[52:53]
	v_pk_add_f32 v[40:41], v[42:43], v[52:53] neg_lo:[0,1] neg_hi:[0,1]
	v_pk_fma_f32 v[34:35], v[34:35], 0.5, v[48:49] op_sel_hi:[1,0,1] neg_lo:[1,0,0] neg_hi:[1,0,0]
	v_pk_mul_f32 v[40:41], v[40:41], s[0:1] op_sel_hi:[1,0]
	v_pk_add_f32 v[92:93], v[48:49], v[42:43]
	v_pk_add_f32 v[42:43], v[34:35], v[40:41] op_sel:[0,1] op_sel_hi:[1,0] neg_lo:[0,1] neg_hi:[0,1]
	v_pk_add_f32 v[34:35], v[34:35], v[40:41] op_sel:[0,1] op_sel_hi:[1,0]
	v_pk_add_f32 v[94:95], v[38:39], v[44:45]
	v_mov_b32_e32 v41, v35
	v_mov_b32_e32 v35, v43
	ds_write_b64 v87, v[34:35] offset:16
	v_pk_add_f32 v[34:35], v[44:45], v[84:85]
	v_pk_add_f32 v[32:33], v[92:93], v[52:53]
	v_pk_fma_f32 v[34:35], v[34:35], 0.5, v[38:39] op_sel_hi:[1,0,1] neg_lo:[1,0,0] neg_hi:[1,0,0]
	v_pk_add_f32 v[38:39], v[44:45], v[84:85] neg_lo:[0,1] neg_hi:[0,1]
	v_mov_b32_e32 v40, v42
	v_pk_mul_f32 v[38:39], v[38:39], s[0:1] op_sel_hi:[1,0]
	ds_write2_b64 v87, v[32:33], v[40:41] offset1:1
	v_pk_add_f32 v[40:41], v[34:35], v[38:39] op_sel:[0,1] op_sel_hi:[1,0] neg_lo:[0,1] neg_hi:[0,1]
	v_pk_add_f32 v[34:35], v[34:35], v[38:39] op_sel:[0,1] op_sel_hi:[1,0]
	v_pk_add_f32 v[32:33], v[94:95], v[84:85]
	v_mov_b32_e32 v38, v40
	v_mov_b32_e32 v39, v35
	;; [unrolled: 1-line block ×3, first 2 shown]
	ds_write2_b64 v88, v[32:33], v[38:39] offset1:1
	ds_write_b64 v88, v[34:35] offset:16
	s_and_saveexec_b64 s[0:1], vcc
	s_cbranch_execz .LBB0_17
; %bb.16:
	v_lshl_add_u32 v34, v89, 3, v113
	v_mov_b32_e32 v32, v83
	v_mov_b32_e32 v33, v80
	ds_write2_b64 v34, v[36:37], v[32:33] offset1:1
	v_mov_b32_e32 v32, v81
	v_mov_b32_e32 v33, v82
	ds_write_b64 v34, v[32:33] offset:16
.LBB0_17:
	s_or_b64 exec, exec, s[0:1]
	s_waitcnt lgkmcnt(0)
	; wave barrier
	s_waitcnt lgkmcnt(0)
	ds_read2_b64 v[44:47], v67 offset1:9
	ds_read2_b64 v[32:35], v67 offset0:18 offset1:30
	ds_read2_b64 v[48:51], v67 offset0:60 offset1:69
	;; [unrolled: 1-line block ×3, first 2 shown]
	ds_read_b64 v[94:95], v67 offset:624
	s_and_saveexec_b64 s[0:1], s[2:3]
	s_xor_b64 s[0:1], exec, s[0:1]
	s_or_saveexec_b64 s[0:1], s[0:1]
	v_mov_b32_e32 v110, v8
	v_mov_b32_e32 v111, v8
	v_mov_b32_e32 v8, v9
	v_mov_b32_e32 v108, v10
	v_mov_b32_e32 v109, v10
	v_mov_b32_e32 v10, v11
	v_mov_b32_e32 v106, v4
	v_mov_b32_e32 v107, v4
	v_mov_b32_e32 v4, v5
	v_mov_b32_e32 v104, v6
	v_mov_b32_e32 v105, v6
	v_mov_b32_e32 v6, v7
	v_mov_b32_e32 v102, v20
	v_mov_b32_e32 v103, v20
	v_mov_b32_e32 v20, v21
	v_mov_b32_e32 v100, v22
	v_mov_b32_e32 v101, v22
	v_mov_b32_e32 v22, v23
	s_xor_b64 exec, exec, s[0:1]
	s_cbranch_execz .LBB0_19
; %bb.18:
	ds_read2_b64 v[36:39], v67 offset0:27 offset1:57
	ds_read_b64 v[52:53], v67 offset:696
	s_waitcnt lgkmcnt(1)
	v_mov_b32_e32 v80, v39
	s_waitcnt lgkmcnt(0)
	v_mov_b32_e32 v81, v52
	v_mov_b32_e32 v82, v53
	;; [unrolled: 1-line block ×3, first 2 shown]
.LBB0_19:
	s_or_b64 exec, exec, s[0:1]
	s_waitcnt lgkmcnt(3)
	v_pk_mul_f32 v[8:9], v[8:9], v[34:35]
	s_waitcnt lgkmcnt(2)
	v_pk_mul_f32 v[10:11], v[10:11], v[48:49]
	v_pk_fma_f32 v[118:119], v[110:111], v[34:35], v[8:9] op_sel:[0,0,1] op_sel_hi:[1,1,0]
	v_pk_fma_f32 v[8:9], v[110:111], v[34:35], v[8:9] op_sel:[0,0,1] op_sel_hi:[1,1,0] neg_lo:[0,0,1] neg_hi:[0,0,1]
	s_mov_b32 s0, 0x3f5db3d7
	v_mov_b32_e32 v119, v9
	v_pk_fma_f32 v[8:9], v[108:109], v[48:49], v[10:11] op_sel:[0,0,1] op_sel_hi:[1,1,0]
	v_pk_fma_f32 v[10:11], v[108:109], v[48:49], v[10:11] op_sel:[0,0,1] op_sel_hi:[1,1,0] neg_lo:[0,0,1] neg_hi:[0,0,1]
	s_waitcnt lgkmcnt(1)
	v_pk_mul_f32 v[4:5], v[4:5], v[40:41]
	v_mov_b32_e32 v9, v11
	v_pk_add_f32 v[10:11], v[118:119], v[8:9]
	v_pk_add_f32 v[34:35], v[118:119], v[8:9] neg_lo:[0,1] neg_hi:[0,1]
	v_pk_fma_f32 v[10:11], v[10:11], 0.5, v[44:45] op_sel_hi:[1,0,1] neg_lo:[1,0,0] neg_hi:[1,0,0]
	v_pk_mul_f32 v[34:35], v[34:35], s[0:1] op_sel_hi:[1,0]
	v_pk_mul_f32 v[6:7], v[6:7], v[50:51]
	v_pk_add_f32 v[48:49], v[10:11], v[34:35] op_sel:[0,1] op_sel_hi:[1,0]
	v_pk_add_f32 v[10:11], v[10:11], v[34:35] op_sel:[0,1] op_sel_hi:[1,0] neg_lo:[0,1] neg_hi:[0,1]
	v_pk_add_f32 v[34:35], v[44:45], v[118:119]
	s_waitcnt lgkmcnt(0)
	v_pk_add_f32 v[8:9], v[34:35], v[8:9]
	v_mov_b32_e32 v34, v10
	v_mov_b32_e32 v35, v49
	; wave barrier
	ds_write2_b64 v115, v[8:9], v[34:35] offset1:3
	v_pk_fma_f32 v[8:9], v[106:107], v[40:41], v[4:5] op_sel:[0,0,1] op_sel_hi:[1,1,0]
	v_pk_fma_f32 v[4:5], v[106:107], v[40:41], v[4:5] op_sel:[0,0,1] op_sel_hi:[1,1,0] neg_lo:[0,0,1] neg_hi:[0,0,1]
	v_mov_b32_e32 v49, v11
	v_mov_b32_e32 v9, v5
	v_pk_fma_f32 v[4:5], v[104:105], v[50:51], v[6:7] op_sel:[0,0,1] op_sel_hi:[1,1,0]
	v_pk_fma_f32 v[6:7], v[104:105], v[50:51], v[6:7] op_sel:[0,0,1] op_sel_hi:[1,1,0] neg_lo:[0,0,1] neg_hi:[0,0,1]
	v_pk_mul_f32 v[20:21], v[20:21], v[42:43]
	v_mov_b32_e32 v5, v7
	v_pk_add_f32 v[6:7], v[46:47], v[8:9]
	v_pk_add_f32 v[10:11], v[8:9], v[4:5]
	;; [unrolled: 1-line block ×3, first 2 shown]
	v_pk_add_f32 v[4:5], v[8:9], v[4:5] neg_lo:[0,1] neg_hi:[0,1]
	v_pk_fma_f32 v[10:11], v[10:11], 0.5, v[46:47] op_sel_hi:[1,0,1] neg_lo:[1,0,0] neg_hi:[1,0,0]
	v_pk_mul_f32 v[4:5], v[4:5], s[0:1] op_sel_hi:[1,0]
	v_pk_mul_f32 v[22:23], v[22:23], v[94:95]
	v_pk_add_f32 v[8:9], v[10:11], v[4:5] op_sel:[0,1] op_sel_hi:[1,0] neg_lo:[0,1] neg_hi:[0,1]
	v_pk_add_f32 v[4:5], v[10:11], v[4:5] op_sel:[0,1] op_sel_hi:[1,0]
	v_mov_b32_e32 v10, v8
	v_mov_b32_e32 v11, v5
	;; [unrolled: 1-line block ×3, first 2 shown]
	ds_write_b64 v115, v[48:49] offset:48
	ds_write2_b64 v114, v[6:7], v[10:11] offset1:3
	ds_write_b64 v114, v[4:5] offset:48
	v_pk_fma_f32 v[4:5], v[102:103], v[42:43], v[20:21] op_sel:[0,0,1] op_sel_hi:[1,1,0]
	v_pk_fma_f32 v[6:7], v[102:103], v[42:43], v[20:21] op_sel:[0,0,1] op_sel_hi:[1,1,0] neg_lo:[0,0,1] neg_hi:[0,0,1]
	v_pk_fma_f32 v[8:9], v[100:101], v[94:95], v[22:23] op_sel:[0,0,1] op_sel_hi:[1,1,0] neg_lo:[0,0,1] neg_hi:[0,0,1]
	v_mov_b32_e32 v5, v7
	v_pk_fma_f32 v[6:7], v[100:101], v[94:95], v[22:23] op_sel:[0,0,1] op_sel_hi:[1,1,0]
	v_mov_b32_e32 v98, v28
	v_mov_b32_e32 v7, v9
	v_pk_add_f32 v[8:9], v[32:33], v[4:5]
	v_pk_add_f32 v[10:11], v[4:5], v[6:7]
	v_pk_add_f32 v[4:5], v[4:5], v[6:7] neg_lo:[0,1] neg_hi:[0,1]
	v_pk_fma_f32 v[10:11], v[10:11], 0.5, v[32:33] op_sel_hi:[1,0,1] neg_lo:[1,0,0] neg_hi:[1,0,0]
	v_pk_mul_f32 v[4:5], v[4:5], s[0:1] op_sel_hi:[1,0]
	v_pk_add_f32 v[8:9], v[8:9], v[6:7]
	v_pk_add_f32 v[6:7], v[10:11], v[4:5] op_sel:[0,1] op_sel_hi:[1,0] neg_lo:[0,1] neg_hi:[0,1]
	v_pk_add_f32 v[4:5], v[10:11], v[4:5] op_sel:[0,1] op_sel_hi:[1,0]
	v_mov_b32_e32 v99, v28
	v_mov_b32_e32 v28, v29
	;; [unrolled: 1-line block ×29, first 2 shown]
	ds_write2_b64 v116, v[8:9], v[10:11] offset1:3
	ds_write_b64 v116, v[4:5] offset:48
	s_and_saveexec_b64 s[2:3], vcc
	s_cbranch_execz .LBB0_21
; %bb.20:
	v_pk_mul_f32 v[4:5], v[0:1], v[80:81] op_sel_hi:[1,0]
	v_and_b32_e32 v8, 0xff, v57
	v_pk_mul_f32 v[6:7], v[2:3], v[82:83] op_sel_hi:[1,0]
	v_lshl_add_u32 v10, v8, 3, v113
	v_pk_fma_f32 v[8:9], v[0:1], v[82:83], v[4:5] op_sel:[0,1,1] op_sel_hi:[1,1,0]
	v_pk_fma_f32 v[0:1], v[0:1], v[82:83], v[4:5] op_sel:[0,1,1] op_sel_hi:[1,1,0] neg_lo:[1,0,0] neg_hi:[1,0,0]
	s_nop 0
	v_mov_b32_e32 v9, v1
	v_pk_fma_f32 v[0:1], v[2:3], v[80:81], v[6:7] op_sel:[0,1,1] op_sel_hi:[1,1,0]
	v_pk_fma_f32 v[2:3], v[2:3], v[80:81], v[6:7] op_sel:[0,1,1] op_sel_hi:[1,1,0] neg_lo:[1,0,0] neg_hi:[1,0,0]
	s_nop 0
	v_mov_b32_e32 v1, v3
	v_pk_add_f32 v[2:3], v[8:9], v[0:1]
	v_pk_add_f32 v[4:5], v[8:9], v[0:1] neg_lo:[0,1] neg_hi:[0,1]
	v_pk_fma_f32 v[2:3], -0.5, v[2:3], v[36:37] op_sel_hi:[0,1,1]
	v_pk_mul_f32 v[4:5], v[4:5], s[0:1] op_sel_hi:[1,0]
	s_nop 0
	v_pk_add_f32 v[6:7], v[2:3], v[4:5] op_sel:[0,1] op_sel_hi:[1,0]
	v_pk_add_f32 v[2:3], v[2:3], v[4:5] op_sel:[0,1] op_sel_hi:[1,0] neg_lo:[0,1] neg_hi:[0,1]
	v_pk_add_f32 v[4:5], v[36:37], v[8:9]
	s_nop 0
	v_pk_add_f32 v[0:1], v[4:5], v[0:1]
	v_mov_b32_e32 v4, v2
	v_mov_b32_e32 v5, v7
	v_mov_b32_e32 v7, v3
	ds_write2_b64 v10, v[0:1], v[4:5] offset0:81 offset1:84
	ds_write_b64 v10, v[6:7] offset:696
.LBB0_21:
	s_or_b64 exec, exec, s[2:3]
	s_waitcnt lgkmcnt(0)
	; wave barrier
	s_waitcnt lgkmcnt(0)
	ds_read2_b64 v[4:7], v67 offset1:9
	ds_read2_b64 v[8:11], v67 offset0:18 offset1:27
	ds_read2_b64 v[20:23], v67 offset0:36 offset1:45
	;; [unrolled: 1-line block ×4, first 2 shown]
	s_waitcnt lgkmcnt(4)
	v_pk_mul_f32 v[28:29], v[28:29], v[6:7]
	v_mad_u64_u32 v[2:3], s[0:1], s6, v66, 0
	v_pk_fma_f32 v[36:37], v[98:99], v[6:7], v[28:29] op_sel:[0,0,1] op_sel_hi:[1,1,0]
	v_pk_fma_f32 v[6:7], v[98:99], v[6:7], v[28:29] op_sel:[0,0,1] op_sel_hi:[1,1,0] neg_lo:[0,0,1] neg_hi:[0,0,1]
	s_waitcnt lgkmcnt(3)
	v_pk_mul_f32 v[28:29], v[30:31], v[8:9]
	s_waitcnt lgkmcnt(0)
	v_pk_mul_f32 v[14:15], v[14:15], v[40:41]
	v_pk_fma_f32 v[30:31], v[96:97], v[8:9], v[28:29] op_sel:[0,0,1] op_sel_hi:[1,1,0]
	v_pk_fma_f32 v[8:9], v[96:97], v[8:9], v[28:29] op_sel:[0,0,1] op_sel_hi:[1,1,0] neg_lo:[0,0,1] neg_hi:[0,0,1]
	v_pk_mul_f32 v[18:19], v[18:19], v[32:33]
	v_mov_b32_e32 v31, v9
	v_pk_mul_f32 v[8:9], v[24:25], v[10:11]
	v_pk_mul_f32 v[12:13], v[12:13], v[34:35]
	v_pk_fma_f32 v[24:25], v[92:93], v[10:11], v[8:9] op_sel:[0,0,1] op_sel_hi:[1,1,0]
	v_pk_fma_f32 v[8:9], v[92:93], v[10:11], v[8:9] op_sel:[0,0,1] op_sel_hi:[1,1,0] neg_lo:[0,0,1] neg_hi:[0,0,1]
	v_pk_mul_f32 v[10:11], v[26:27], v[20:21]
	v_mov_b32_e32 v25, v9
	v_pk_fma_f32 v[26:27], v[90:91], v[20:21], v[10:11] op_sel:[0,0,1] op_sel_hi:[1,1,0]
	v_pk_fma_f32 v[10:11], v[90:91], v[20:21], v[10:11] op_sel:[0,0,1] op_sel_hi:[1,1,0] neg_lo:[0,0,1] neg_hi:[0,0,1]
	v_pk_fma_f32 v[20:21], v[86:87], v[32:33], v[18:19] op_sel:[0,0,1] op_sel_hi:[1,1,0]
	v_mov_b32_e32 v27, v11
	v_pk_mul_f32 v[10:11], v[16:17], v[22:23]
	v_pk_fma_f32 v[18:19], v[86:87], v[32:33], v[18:19] op_sel:[0,0,1] op_sel_hi:[1,1,0] neg_lo:[0,0,1] neg_hi:[0,0,1]
	v_pk_fma_f32 v[16:17], v[88:89], v[22:23], v[10:11] op_sel:[0,0,1] op_sel_hi:[1,1,0]
	v_pk_fma_f32 v[10:11], v[88:89], v[22:23], v[10:11] op_sel:[0,0,1] op_sel_hi:[1,1,0] neg_lo:[0,0,1] neg_hi:[0,0,1]
	v_pk_fma_f32 v[22:23], v[52:53], v[40:41], v[14:15] op_sel:[0,0,1] op_sel_hi:[1,1,0]
	v_pk_fma_f32 v[14:15], v[52:53], v[40:41], v[14:15] op_sel:[0,0,1] op_sel_hi:[1,1,0] neg_lo:[0,0,1] neg_hi:[0,0,1]
	v_mov_b32_e32 v21, v19
	v_mov_b32_e32 v23, v15
	v_pk_mul_f32 v[14:15], v[78:79], v[42:43]
	v_pk_fma_f32 v[18:19], v[84:85], v[34:35], v[12:13] op_sel:[0,0,1] op_sel_hi:[1,1,0]
	v_pk_fma_f32 v[28:29], v[38:39], v[42:43], v[14:15] op_sel:[0,0,1] op_sel_hi:[1,1,0]
	v_pk_fma_f32 v[14:15], v[38:39], v[42:43], v[14:15] op_sel:[0,0,1] op_sel_hi:[1,1,0] neg_lo:[0,0,1] neg_hi:[0,0,1]
	v_mov_b32_e32 v42, v24
	v_mov_b32_e32 v43, v28
	;; [unrolled: 1-line block ×4, first 2 shown]
	v_pk_fma_f32 v[12:13], v[84:85], v[34:35], v[12:13] op_sel:[0,0,1] op_sel_hi:[1,1,0] neg_lo:[0,0,1] neg_hi:[0,0,1]
	v_pk_add_f32 v[46:47], v[42:43], v[44:45] neg_lo:[0,1] neg_hi:[0,1]
	v_mov_b32_e32 v17, v11
	v_mov_b32_e32 v19, v13
	;; [unrolled: 1-line block ×4, first 2 shown]
	v_pk_add_f32 v[34:35], v[16:17], v[18:19]
	v_pk_add_f32 v[40:41], v[16:17], v[18:19] neg_lo:[0,1] neg_hi:[0,1]
	v_pk_add_f32 v[46:47], v[46:47], v[6:7]
	s_mov_b32 s0, 0x3e9e377a
	v_fma_f32 v8, -0.5, v34, v36
	v_pk_add_f32 v[38:39], v[24:25], v[28:29] neg_lo:[0,1] neg_hi:[0,1]
	v_mov_b32_e32 v47, v41
	s_mov_b32 s1, 0x3f167918
	v_fmamk_f32 v10, v39, 0xbf737871, v8
	v_pk_mul_f32 v[46:47], v[46:47], s[0:1]
	v_fmac_f32_e32 v8, 0x3f737871, v39
	v_pk_add_f32 v[42:43], v[44:45], v[42:43] neg_lo:[0,1] neg_hi:[0,1]
	v_sub_f32_e32 v6, v10, v47
	v_add_f32_e32 v8, v47, v8
	v_mov_b32_e32 v10, v43
	v_add_f32_e32 v6, v46, v6
	v_add_f32_e32 v8, v46, v8
	v_pk_add_f32 v[46:47], v[24:25], v[28:29]
	v_mov_b32_e32 v12, v36
	v_pk_add_f32 v[42:43], v[42:43], v[10:11]
	v_fmac_f32_e32 v12, -0.5, v46
	v_mov_b32_e32 v43, v39
	v_mov_b32_e32 v37, v7
	v_fmamk_f32 v14, v41, 0x3f737871, v12
	v_pk_mul_f32 v[42:43], v[42:43], s[0:1]
	v_fmac_f32_e32 v12, 0xbf737871, v41
	v_add_f32_e32 v12, v43, v12
	v_pk_add_f32 v[24:25], v[36:37], v[24:25]
	v_sub_f32_e32 v10, v14, v43
	v_add_f32_e32 v34, v42, v12
	v_pk_add_f32 v[16:17], v[24:25], v[16:17]
	v_mov_b32_e32 v14, v9
	v_mov_b32_e32 v12, v11
	v_pk_add_f32 v[16:17], v[16:17], v[18:19]
	v_pk_add_f32 v[18:19], v[14:15], v[12:13] neg_lo:[0,1] neg_hi:[0,1]
	v_fma_f32 v25, -0.5, v35, v7
	v_mov_b32_e32 v24, v19
	v_pk_add_f32 v[18:19], v[18:19], v[24:25]
	v_pk_add_f32 v[12:13], v[12:13], v[14:15] neg_lo:[0,1] neg_hi:[0,1]
	v_mov_b32_e32 v19, v40
	v_pk_add_f32 v[16:17], v[16:17], v[28:29]
	v_fmamk_f32 v28, v38, 0x3f737871, v25
	v_pk_mul_f32 v[18:19], v[18:19], s[0:1]
	v_mov_b32_e32 v14, v13
	v_add_f32_e32 v9, v19, v28
	v_fmac_f32_e32 v25, 0xbf737871, v38
	v_pk_add_f32 v[12:13], v[12:13], v[14:15]
	s_mov_b32 s2, 0x3f737871
	v_add_f32_e32 v24, v18, v9
	v_sub_f32_e32 v9, v25, v19
	v_fmac_f32_e32 v7, -0.5, v47
	v_mov_b32_e32 v13, v38
	v_pk_add_f32 v[36:37], v[26:27], v[20:21]
	v_pk_add_f32 v[38:39], v[30:31], v[22:23] neg_lo:[0,1] neg_hi:[0,1]
	v_mov_b32_e32 v0, s8
	v_add_f32_e32 v10, v42, v10
	v_add_f32_e32 v18, v18, v9
	v_fmamk_f32 v9, v40, 0xbf737871, v7
	v_fmac_f32_e32 v7, 0x3f737871, v40
	v_pk_fma_f32 v[36:37], v[36:37], 0.5, v[4:5] op_sel_hi:[1,0,1] neg_lo:[1,0,0] neg_hi:[1,0,0]
	v_pk_mul_f32 v[40:41], v[38:39], s[2:3] op_sel_hi:[1,0]
	v_pk_add_f32 v[42:43], v[26:27], v[20:21] neg_lo:[0,1] neg_hi:[0,1]
	s_mov_b32 s6, s1
	v_pk_add_f32 v[46:47], v[30:31], v[26:27] neg_lo:[0,1] neg_hi:[0,1]
	v_pk_add_f32 v[48:49], v[22:23], v[20:21] neg_lo:[0,1] neg_hi:[0,1]
	s_mov_b32 s8, 0x3f4f1bbd
	v_pk_add_f32 v[32:33], v[4:5], v[30:31]
	v_pk_mul_f32 v[12:13], v[12:13], s[0:1]
	v_pk_mul_f32 v[44:45], v[42:43], s[6:7] op_sel_hi:[1,0]
	v_pk_add_f32 v[46:47], v[46:47], v[48:49]
	v_pk_add_f32 v[48:49], v[36:37], v[40:41] op_sel:[0,1] op_sel_hi:[1,0] neg_lo:[0,1] neg_hi:[0,1]
	v_pk_add_f32 v[36:37], v[36:37], v[40:41] op_sel:[0,1] op_sel_hi:[1,0]
	s_mov_b32 s10, s1
	s_mov_b32 s11, s8
	v_mov_b32_e32 v1, s9
	v_pk_add_f32 v[32:33], v[32:33], v[26:27]
	v_add_f32_e32 v9, v13, v9
	v_sub_f32_e32 v7, v7, v13
	v_pk_add_f32 v[36:37], v[36:37], v[44:45] op_sel:[0,1] op_sel_hi:[1,0]
	v_pk_add_f32 v[40:41], v[48:49], v[44:45] op_sel:[0,1] op_sel_hi:[1,0] neg_lo:[0,1] neg_hi:[0,1]
	s_mov_b32 s9, s1
	v_pk_mul_f32 v[24:25], v[24:25], s[10:11] op_sel_hi:[0,1]
	v_pk_add_f32 v[32:33], v[32:33], v[20:21]
	v_add_f32_e32 v14, v12, v9
	v_add_f32_e32 v12, v12, v7
	v_mov_b32_e32 v44, v40
	v_mov_b32_e32 v45, v37
	v_pk_fma_f32 v[48:49], v[6:7], s[8:9], v[24:25] neg_lo:[0,0,1] neg_hi:[0,0,1]
	v_pk_fma_f32 v[6:7], v[6:7], s[8:9], v[24:25] op_sel_hi:[0,1,1]
	v_pk_add_f32 v[32:33], v[32:33], v[22:23]
	v_pk_fma_f32 v[44:45], v[46:47], s[0:1], v[44:45] op_sel_hi:[1,0,1]
	v_mov_b32_e32 v49, v7
	v_pk_add_f32 v[28:29], v[32:33], v[16:17]
	v_pk_add_f32 v[6:7], v[44:45], v[48:49]
	ds_write2_b64 v67, v[28:29], v[6:7] offset1:9
	v_pk_add_f32 v[6:7], v[30:31], v[22:23]
	s_mov_b32 s3, s0
	v_pk_fma_f32 v[4:5], v[6:7], 0.5, v[4:5] op_sel_hi:[1,0,1] neg_lo:[1,0,0] neg_hi:[1,0,0]
	v_pk_add_f32 v[6:7], v[26:27], v[30:31] neg_lo:[0,1] neg_hi:[0,1]
	v_pk_add_f32 v[20:21], v[20:21], v[22:23] neg_lo:[0,1] neg_hi:[0,1]
	s_mov_b32 s8, s0
	s_mov_b32 s9, s2
	v_pk_mul_f32 v[14:15], v[14:15], s[2:3] op_sel_hi:[0,1]
	v_pk_add_f32 v[6:7], v[6:7], v[20:21]
	v_pk_fma_f32 v[20:21], v[10:11], s[8:9], v[14:15] neg_lo:[0,0,1] neg_hi:[0,0,1]
	v_pk_fma_f32 v[10:11], v[10:11], s[8:9], v[14:15] op_sel_hi:[0,1,1]
	v_mov_b32_e32 v21, v11
	v_pk_mul_f32 v[10:11], v[42:43], s[2:3] op_sel_hi:[1,0]
	v_pk_mul_f32 v[14:15], v[38:39], s[6:7] op_sel_hi:[1,0]
	v_pk_add_f32 v[22:23], v[4:5], v[10:11] op_sel:[0,1] op_sel_hi:[1,0]
	v_pk_add_f32 v[4:5], v[4:5], v[10:11] op_sel:[0,1] op_sel_hi:[1,0] neg_lo:[0,1] neg_hi:[0,1]
	v_pk_add_f32 v[10:11], v[22:23], v[14:15] op_sel:[0,1] op_sel_hi:[1,0] neg_lo:[0,1] neg_hi:[0,1]
	v_pk_add_f32 v[4:5], v[4:5], v[14:15] op_sel:[0,1] op_sel_hi:[1,0]
	v_mov_b32_e32 v14, v10
	v_mov_b32_e32 v15, v5
	s_mov_b32 s8, 0xbe9e377a
	v_pk_mul_f32 v[12:13], v[12:13], s[2:3] op_sel_hi:[0,1]
	v_mov_b32_e32 v5, v11
	v_pk_fma_f32 v[14:15], v[6:7], s[0:1], v[14:15] op_sel_hi:[1,0,1]
	v_pk_fma_f32 v[12:13], v[34:35], s[8:9], v[12:13] op_sel_hi:[0,1,1] neg_lo:[0,0,1] neg_hi:[0,0,1]
	v_pk_fma_f32 v[4:5], v[6:7], s[0:1], v[4:5] op_sel_hi:[1,0,1]
	v_pk_add_f32 v[22:23], v[14:15], v[20:21]
	v_pk_add_f32 v[6:7], v[4:5], v[12:13]
	ds_write2_b64 v67, v[22:23], v[6:7] offset0:18 offset1:27
	s_mov_b32 s2, 0xbf4f1bbd
	s_mov_b32 s3, s1
	v_pk_mul_f32 v[6:7], v[18:19], s[10:11] op_sel_hi:[0,1]
	v_mov_b32_e32 v37, v41
	v_pk_fma_f32 v[6:7], v[8:9], s[2:3], v[6:7] op_sel_hi:[0,1,1] neg_lo:[0,0,1] neg_hi:[0,0,1]
	v_pk_fma_f32 v[8:9], v[46:47], s[0:1], v[36:37] op_sel_hi:[1,0,1]
	v_pk_add_f32 v[16:17], v[32:33], v[16:17] neg_lo:[0,1] neg_hi:[0,1]
	v_pk_add_f32 v[10:11], v[8:9], v[6:7]
	ds_write2_b64 v67, v[10:11], v[16:17] offset0:36 offset1:45
	v_pk_add_f32 v[10:11], v[44:45], v[48:49] neg_lo:[0,1] neg_hi:[0,1]
	v_pk_add_f32 v[14:15], v[14:15], v[20:21] neg_lo:[0,1] neg_hi:[0,1]
	;; [unrolled: 1-line block ×4, first 2 shown]
	ds_write2_b64 v67, v[10:11], v[14:15] offset0:54 offset1:63
	ds_write2_b64 v67, v[4:5], v[6:7] offset0:72 offset1:81
	s_waitcnt lgkmcnt(0)
	; wave barrier
	s_waitcnt lgkmcnt(0)
	ds_read2_b64 v[4:7], v67 offset1:9
	v_mov_b32_e32 v8, v3
	v_mad_u64_u32 v[8:9], s[0:1], s7, v66, v[8:9]
	v_mov_b32_e32 v3, v8
	s_waitcnt lgkmcnt(0)
	v_mul_f32_e32 v8, v77, v5
	v_fmac_f32_e32 v8, v76, v4
	v_mul_f32_e32 v4, v77, v4
	s_mov_b32 s0, 0x16c16c17
	v_fma_f32 v4, v76, v5, -v4
	s_mov_b32 s1, 0x3f86c16c
	v_cvt_f64_f32_e32 v[4:5], v4
	v_cvt_f64_f32_e32 v[8:9], v8
	v_mul_f64 v[4:5], v[4:5], s[0:1]
	v_mul_f64 v[8:9], v[8:9], s[0:1]
	v_cvt_f32_f64_e32 v13, v[4:5]
	v_mad_u64_u32 v[4:5], s[2:3], s4, v56, 0
	v_cvt_f32_f64_e32 v12, v[8:9]
	v_mov_b32_e32 v8, v5
	v_mad_u64_u32 v[14:15], s[2:3], s5, v56, v[8:9]
	ds_read2_b64 v[8:11], v67 offset0:18 offset1:30
	v_mov_b32_e32 v5, v14
	v_lshl_add_u64 v[14:15], v[2:3], 3, v[0:1]
	v_lshl_add_u64 v[4:5], v[4:5], 3, v[14:15]
	global_store_dwordx2 v[4:5], v[12:13], off
	s_waitcnt lgkmcnt(0)
	v_mul_f32_e32 v0, v75, v11
	v_fmac_f32_e32 v0, v74, v10
	v_cvt_f64_f32_e32 v[0:1], v0
	v_mul_f64 v[0:1], v[0:1], s[0:1]
	v_cvt_f32_f64_e32 v12, v[0:1]
	v_mul_f32_e32 v0, v75, v10
	v_fma_f32 v0, v74, v11, -v0
	v_cvt_f64_f32_e32 v[0:1], v0
	v_mul_f64 v[0:1], v[0:1], s[0:1]
	v_cvt_f32_f64_e32 v13, v[0:1]
	ds_read2_b64 v[0:3], v67 offset0:60 offset1:69
	s_mul_i32 s2, s5, 30
	s_mul_hi_u32 s3, s4, 30
	s_add_i32 s3, s3, s2
	s_mul_i32 s2, s4, 30
	s_waitcnt lgkmcnt(0)
	v_mul_f32_e32 v10, v71, v1
	v_fmac_f32_e32 v10, v70, v0
	v_mul_f32_e32 v0, v71, v0
	v_fma_f32 v0, v70, v1, -v0
	s_lshl_b64 s[2:3], s[2:3], 3
	v_cvt_f64_f32_e32 v[10:11], v10
	v_cvt_f64_f32_e32 v[0:1], v0
	v_lshl_add_u64 v[4:5], v[4:5], 0, s[2:3]
	v_mul_f64 v[10:11], v[10:11], s[0:1]
	v_mul_f64 v[0:1], v[0:1], s[0:1]
	global_store_dwordx2 v[4:5], v[12:13], off
	v_cvt_f32_f64_e32 v10, v[10:11]
	v_cvt_f32_f64_e32 v11, v[0:1]
	v_lshl_add_u64 v[0:1], v[4:5], 0, s[2:3]
	v_mul_f32_e32 v4, v73, v7
	v_fmac_f32_e32 v4, v72, v6
	v_cvt_f64_f32_e32 v[4:5], v4
	v_mul_f64 v[4:5], v[4:5], s[0:1]
	global_store_dwordx2 v[0:1], v[10:11], off
	v_cvt_f32_f64_e32 v10, v[4:5]
	v_mul_f32_e32 v4, v73, v6
	v_fma_f32 v4, v72, v7, -v4
	v_cvt_f64_f32_e32 v[4:5], v4
	v_mul_f64 v[4:5], v[4:5], s[0:1]
	v_cvt_f32_f64_e32 v11, v[4:5]
	s_mul_hi_u32 s7, s4, 0xffffffcd
	ds_read2_b64 v[4:7], v67 offset0:39 offset1:48
	s_mul_i32 s6, s5, 0xffffffcd
	s_sub_i32 s7, s7, s4
	s_add_i32 s7, s7, s6
	s_mul_i32 s6, s4, 0xffffffcd
	s_lshl_b64 s[8:9], s[6:7], 3
	v_lshl_add_u64 v[0:1], v[0:1], 0, s[8:9]
	global_store_dwordx2 v[0:1], v[10:11], off
	s_waitcnt lgkmcnt(0)
	v_mul_f32_e32 v10, v69, v5
	v_fmac_f32_e32 v10, v68, v4
	v_mul_f32_e32 v4, v69, v4
	v_fma_f32 v4, v68, v5, -v4
	v_cvt_f64_f32_e32 v[10:11], v10
	v_cvt_f64_f32_e32 v[4:5], v4
	v_mul_f64 v[10:11], v[10:11], s[0:1]
	v_mul_f64 v[4:5], v[4:5], s[0:1]
	v_cvt_f32_f64_e32 v10, v[10:11]
	v_cvt_f32_f64_e32 v11, v[4:5]
	v_mul_f32_e32 v4, v65, v3
	v_fmac_f32_e32 v4, v64, v2
	v_mul_f32_e32 v2, v65, v2
	v_fma_f32 v2, v64, v3, -v2
	v_cvt_f64_f32_e32 v[4:5], v4
	v_cvt_f64_f32_e32 v[2:3], v2
	v_mul_f64 v[4:5], v[4:5], s[0:1]
	v_mul_f64 v[2:3], v[2:3], s[0:1]
	v_cvt_f32_f64_e32 v4, v[4:5]
	v_cvt_f32_f64_e32 v5, v[2:3]
	v_mul_f32_e32 v2, v61, v9
	v_fmac_f32_e32 v2, v60, v8
	v_cvt_f64_f32_e32 v[2:3], v2
	v_mul_f64 v[2:3], v[2:3], s[0:1]
	v_lshl_add_u64 v[0:1], v[0:1], 0, s[2:3]
	v_cvt_f32_f64_e32 v2, v[2:3]
	v_mul_f32_e32 v3, v61, v8
	global_store_dwordx2 v[0:1], v[10:11], off
	v_lshl_add_u64 v[0:1], v[0:1], 0, s[2:3]
	v_fma_f32 v3, v60, v9, -v3
	global_store_dwordx2 v[0:1], v[4:5], off
	v_cvt_f64_f32_e32 v[4:5], v3
	v_mul_f64 v[4:5], v[4:5], s[0:1]
	v_cvt_f32_f64_e32 v3, v[4:5]
	v_lshl_add_u64 v[0:1], v[0:1], 0, s[8:9]
	global_store_dwordx2 v[0:1], v[2:3], off
	v_mul_f32_e32 v2, v63, v7
	v_fmac_f32_e32 v2, v62, v6
	v_cvt_f64_f32_e32 v[2:3], v2
	v_mul_f64 v[2:3], v[2:3], s[0:1]
	v_cvt_f32_f64_e32 v2, v[2:3]
	v_mul_f32_e32 v3, v63, v6
	v_fma_f32 v3, v62, v7, -v3
	v_cvt_f64_f32_e32 v[4:5], v3
	v_mul_f64 v[4:5], v[4:5], s[0:1]
	v_cvt_f32_f64_e32 v3, v[4:5]
	v_mad_u64_u32 v[4:5], s[8:9], s4, v112, 0
	ds_read_b64 v[8:9], v67 offset:624
	v_mov_b32_e32 v6, v5
	v_mad_u64_u32 v[6:7], s[8:9], s5, v112, v[6:7]
	v_mov_b32_e32 v5, v6
	v_lshl_add_u64 v[4:5], v[4:5], 3, v[14:15]
	global_store_dwordx2 v[4:5], v[2:3], off
	s_waitcnt lgkmcnt(0)
	v_mul_f32_e32 v2, v59, v9
	v_fmac_f32_e32 v2, v58, v8
	v_cvt_f64_f32_e32 v[2:3], v2
	v_mul_f64 v[2:3], v[2:3], s[0:1]
	v_cvt_f32_f64_e32 v2, v[2:3]
	v_mul_f32_e32 v3, v59, v8
	v_fma_f32 v3, v58, v9, -v3
	v_cvt_f64_f32_e32 v[4:5], v3
	v_mul_f64 v[4:5], v[4:5], s[0:1]
	v_cvt_f32_f64_e32 v3, v[4:5]
	v_mov_b32_e32 v4, 0x1e0
	v_mad_u64_u32 v[0:1], s[8:9], s4, v4, v[0:1]
	s_mul_i32 s4, s5, 0x1e0
	v_add_u32_e32 v1, s4, v1
	global_store_dwordx2 v[0:1], v[2:3], off
	s_and_b64 exec, exec, vcc
	s_cbranch_execz .LBB0_23
; %bb.22:
	global_load_dwordx2 v[6:7], v[54:55], off offset:216
	global_load_dwordx2 v[8:9], v[54:55], off offset:456
	;; [unrolled: 1-line block ×3, first 2 shown]
	ds_read2_b64 v[2:5], v67 offset0:27 offset1:57
	ds_read_b64 v[12:13], v67 offset:696
	v_lshl_add_u64 v[0:1], s[6:7], 3, v[0:1]
	v_lshl_add_u64 v[14:15], v[0:1], 0, s[2:3]
	;; [unrolled: 1-line block ×3, first 2 shown]
	s_waitcnt vmcnt(2) lgkmcnt(1)
	v_mul_f32_e32 v18, v3, v7
	v_mul_f32_e32 v7, v2, v7
	s_waitcnt vmcnt(1)
	v_mul_f32_e32 v19, v5, v9
	v_mul_f32_e32 v9, v4, v9
	s_waitcnt vmcnt(0) lgkmcnt(0)
	v_mul_f32_e32 v20, v13, v11
	v_mul_f32_e32 v11, v12, v11
	v_fmac_f32_e32 v18, v2, v6
	v_fma_f32 v6, v6, v3, -v7
	v_fmac_f32_e32 v19, v4, v8
	v_fma_f32 v8, v8, v5, -v9
	;; [unrolled: 2-line block ×3, first 2 shown]
	v_cvt_f64_f32_e32 v[2:3], v18
	v_cvt_f64_f32_e32 v[4:5], v6
	;; [unrolled: 1-line block ×6, first 2 shown]
	v_mul_f64 v[2:3], v[2:3], s[0:1]
	v_mul_f64 v[4:5], v[4:5], s[0:1]
	;; [unrolled: 1-line block ×6, first 2 shown]
	v_cvt_f32_f64_e32 v2, v[2:3]
	v_cvt_f32_f64_e32 v3, v[4:5]
	;; [unrolled: 1-line block ×6, first 2 shown]
	global_store_dwordx2 v[0:1], v[2:3], off
	global_store_dwordx2 v[14:15], v[4:5], off
	;; [unrolled: 1-line block ×3, first 2 shown]
.LBB0_23:
	s_endpgm
	.section	.rodata,"a",@progbits
	.p2align	6, 0x0
	.amdhsa_kernel bluestein_single_back_len90_dim1_sp_op_CI_CI
		.amdhsa_group_segment_fixed_size 5040
		.amdhsa_private_segment_fixed_size 0
		.amdhsa_kernarg_size 104
		.amdhsa_user_sgpr_count 2
		.amdhsa_user_sgpr_dispatch_ptr 0
		.amdhsa_user_sgpr_queue_ptr 0
		.amdhsa_user_sgpr_kernarg_segment_ptr 1
		.amdhsa_user_sgpr_dispatch_id 0
		.amdhsa_user_sgpr_kernarg_preload_length 0
		.amdhsa_user_sgpr_kernarg_preload_offset 0
		.amdhsa_user_sgpr_private_segment_size 0
		.amdhsa_uses_dynamic_stack 0
		.amdhsa_enable_private_segment 0
		.amdhsa_system_sgpr_workgroup_id_x 1
		.amdhsa_system_sgpr_workgroup_id_y 0
		.amdhsa_system_sgpr_workgroup_id_z 0
		.amdhsa_system_sgpr_workgroup_info 0
		.amdhsa_system_vgpr_workitem_id 0
		.amdhsa_next_free_vgpr 126
		.amdhsa_next_free_sgpr 18
		.amdhsa_accum_offset 128
		.amdhsa_reserve_vcc 1
		.amdhsa_float_round_mode_32 0
		.amdhsa_float_round_mode_16_64 0
		.amdhsa_float_denorm_mode_32 3
		.amdhsa_float_denorm_mode_16_64 3
		.amdhsa_dx10_clamp 1
		.amdhsa_ieee_mode 1
		.amdhsa_fp16_overflow 0
		.amdhsa_tg_split 0
		.amdhsa_exception_fp_ieee_invalid_op 0
		.amdhsa_exception_fp_denorm_src 0
		.amdhsa_exception_fp_ieee_div_zero 0
		.amdhsa_exception_fp_ieee_overflow 0
		.amdhsa_exception_fp_ieee_underflow 0
		.amdhsa_exception_fp_ieee_inexact 0
		.amdhsa_exception_int_div_zero 0
	.end_amdhsa_kernel
	.text
.Lfunc_end0:
	.size	bluestein_single_back_len90_dim1_sp_op_CI_CI, .Lfunc_end0-bluestein_single_back_len90_dim1_sp_op_CI_CI
                                        ; -- End function
	.section	.AMDGPU.csdata,"",@progbits
; Kernel info:
; codeLenInByte = 8164
; NumSgprs: 24
; NumVgprs: 126
; NumAgprs: 0
; TotalNumVgprs: 126
; ScratchSize: 0
; MemoryBound: 0
; FloatMode: 240
; IeeeMode: 1
; LDSByteSize: 5040 bytes/workgroup (compile time only)
; SGPRBlocks: 2
; VGPRBlocks: 15
; NumSGPRsForWavesPerEU: 24
; NumVGPRsForWavesPerEU: 126
; AccumOffset: 128
; Occupancy: 4
; WaveLimiterHint : 1
; COMPUTE_PGM_RSRC2:SCRATCH_EN: 0
; COMPUTE_PGM_RSRC2:USER_SGPR: 2
; COMPUTE_PGM_RSRC2:TRAP_HANDLER: 0
; COMPUTE_PGM_RSRC2:TGID_X_EN: 1
; COMPUTE_PGM_RSRC2:TGID_Y_EN: 0
; COMPUTE_PGM_RSRC2:TGID_Z_EN: 0
; COMPUTE_PGM_RSRC2:TIDIG_COMP_CNT: 0
; COMPUTE_PGM_RSRC3_GFX90A:ACCUM_OFFSET: 31
; COMPUTE_PGM_RSRC3_GFX90A:TG_SPLIT: 0
	.text
	.p2alignl 6, 3212836864
	.fill 256, 4, 3212836864
	.type	__hip_cuid_f86eb0bffe619679,@object ; @__hip_cuid_f86eb0bffe619679
	.section	.bss,"aw",@nobits
	.globl	__hip_cuid_f86eb0bffe619679
__hip_cuid_f86eb0bffe619679:
	.byte	0                               ; 0x0
	.size	__hip_cuid_f86eb0bffe619679, 1

	.ident	"AMD clang version 19.0.0git (https://github.com/RadeonOpenCompute/llvm-project roc-6.4.0 25133 c7fe45cf4b819c5991fe208aaa96edf142730f1d)"
	.section	".note.GNU-stack","",@progbits
	.addrsig
	.addrsig_sym __hip_cuid_f86eb0bffe619679
	.amdgpu_metadata
---
amdhsa.kernels:
  - .agpr_count:     0
    .args:
      - .actual_access:  read_only
        .address_space:  global
        .offset:         0
        .size:           8
        .value_kind:     global_buffer
      - .actual_access:  read_only
        .address_space:  global
        .offset:         8
        .size:           8
        .value_kind:     global_buffer
      - .actual_access:  read_only
        .address_space:  global
        .offset:         16
        .size:           8
        .value_kind:     global_buffer
      - .actual_access:  read_only
        .address_space:  global
        .offset:         24
        .size:           8
        .value_kind:     global_buffer
      - .actual_access:  read_only
        .address_space:  global
        .offset:         32
        .size:           8
        .value_kind:     global_buffer
      - .offset:         40
        .size:           8
        .value_kind:     by_value
      - .address_space:  global
        .offset:         48
        .size:           8
        .value_kind:     global_buffer
      - .address_space:  global
        .offset:         56
        .size:           8
        .value_kind:     global_buffer
      - .address_space:  global
        .offset:         64
        .size:           8
        .value_kind:     global_buffer
      - .address_space:  global
        .offset:         72
        .size:           8
        .value_kind:     global_buffer
      - .offset:         80
        .size:           4
        .value_kind:     by_value
      - .address_space:  global
        .offset:         88
        .size:           8
        .value_kind:     global_buffer
      - .address_space:  global
        .offset:         96
        .size:           8
        .value_kind:     global_buffer
    .group_segment_fixed_size: 5040
    .kernarg_segment_align: 8
    .kernarg_segment_size: 104
    .language:       OpenCL C
    .language_version:
      - 2
      - 0
    .max_flat_workgroup_size: 63
    .name:           bluestein_single_back_len90_dim1_sp_op_CI_CI
    .private_segment_fixed_size: 0
    .sgpr_count:     24
    .sgpr_spill_count: 0
    .symbol:         bluestein_single_back_len90_dim1_sp_op_CI_CI.kd
    .uniform_work_group_size: 1
    .uses_dynamic_stack: false
    .vgpr_count:     126
    .vgpr_spill_count: 0
    .wavefront_size: 64
amdhsa.target:   amdgcn-amd-amdhsa--gfx950
amdhsa.version:
  - 1
  - 2
...

	.end_amdgpu_metadata
